;; amdgpu-corpus repo=ROCm/rocFFT kind=compiled arch=gfx1030 opt=O3
	.text
	.amdgcn_target "amdgcn-amd-amdhsa--gfx1030"
	.amdhsa_code_object_version 6
	.protected	bluestein_single_back_len1331_dim1_half_op_CI_CI ; -- Begin function bluestein_single_back_len1331_dim1_half_op_CI_CI
	.globl	bluestein_single_back_len1331_dim1_half_op_CI_CI
	.p2align	8
	.type	bluestein_single_back_len1331_dim1_half_op_CI_CI,@function
bluestein_single_back_len1331_dim1_half_op_CI_CI: ; @bluestein_single_back_len1331_dim1_half_op_CI_CI
; %bb.0:
	s_load_dwordx4 s[12:15], s[4:5], 0x28
	v_mul_u32_u24_e32 v1, 0x21e, v0
	v_mov_b32_e32 v17, 0
	s_mov_b32 s0, exec_lo
	v_lshrrev_b32_e32 v13, 16, v1
	v_lshl_add_u32 v16, s6, 1, v13
	s_waitcnt lgkmcnt(0)
	v_cmpx_gt_u64_e64 s[12:13], v[16:17]
	s_cbranch_execz .LBB0_2
; %bb.1:
	s_clause 0x1
	s_load_dwordx4 s[8:11], s[4:5], 0x18
	s_load_dwordx4 s[0:3], s[4:5], 0x0
	v_mul_lo_u16 v1, 0x79, v13
	v_and_b32_e32 v13, 1, v13
	s_load_dwordx2 s[4:5], s[4:5], 0x38
	v_sub_nc_u16 v0, v0, v1
	v_and_b32_e32 v40, 0xffff, v0
	v_lshlrev_b32_e32 v12, 2, v40
	s_waitcnt lgkmcnt(0)
	s_load_dwordx4 s[16:19], s[8:9], 0x0
	s_clause 0x4
	global_load_dword v44, v12, s[0:1]
	global_load_dword v42, v12, s[0:1] offset:484
	global_load_dword v41, v12, s[0:1] offset:968
	;; [unrolled: 1-line block ×4, first 2 shown]
	v_add_co_u32 v25, s0, s0, v12
	v_add_co_ci_u32_e64 v26, null, s1, 0, s0
	s_waitcnt lgkmcnt(0)
	v_mad_u64_u32 v[1:2], null, s18, v16, 0
	v_mad_u64_u32 v[3:4], null, s16, v40, 0
	s_mul_i32 s0, s17, 0x1e4
	s_mul_hi_u32 s1, s16, 0x1e4
	s_mul_i32 s6, s16, 0x1e4
	s_add_i32 s1, s1, s0
	v_mad_u64_u32 v[5:6], null, s19, v16, v[2:3]
	v_mov_b32_e32 v2, v4
	v_mad_u64_u32 v[6:7], null, s17, v40, v[2:3]
	v_mov_b32_e32 v2, v5
	v_lshlrev_b64 v[1:2], 2, v[1:2]
	v_mov_b32_e32 v4, v6
	v_lshlrev_b64 v[3:4], 2, v[3:4]
	v_add_co_u32 v1, vcc_lo, s14, v1
	v_add_co_ci_u32_e32 v2, vcc_lo, s15, v2, vcc_lo
	v_add_co_u32 v1, vcc_lo, v1, v3
	v_add_co_ci_u32_e32 v2, vcc_lo, v2, v4, vcc_lo
	;; [unrolled: 2-line block ×3, first 2 shown]
	s_clause 0x1
	global_load_dword v10, v[1:2], off
	global_load_dword v7, v[3:4], off
	v_add_co_u32 v1, vcc_lo, v3, s6
	v_add_co_ci_u32_e32 v2, vcc_lo, s1, v4, vcc_lo
	v_add_co_u32 v3, vcc_lo, v1, s6
	v_add_co_ci_u32_e32 v4, vcc_lo, s1, v2, vcc_lo
	;; [unrolled: 2-line block ×3, first 2 shown]
	s_clause 0x1
	global_load_dword v8, v[1:2], off
	global_load_dword v6, v[3:4], off
	v_add_co_u32 v1, vcc_lo, v3, s6
	v_add_co_ci_u32_e32 v2, vcc_lo, s1, v4, vcc_lo
	s_clause 0x3
	global_load_dword v35, v[14:15], off offset:372
	global_load_dword v34, v[14:15], off offset:856
	;; [unrolled: 1-line block ×4, first 2 shown]
	v_add_co_u32 v3, vcc_lo, v1, s6
	v_add_co_ci_u32_e32 v4, vcc_lo, s1, v2, vcc_lo
	global_load_dword v11, v[1:2], off
	v_add_co_u32 v1, vcc_lo, v3, s6
	v_add_co_ci_u32_e32 v2, vcc_lo, s1, v4, vcc_lo
	global_load_dword v9, v[3:4], off
	;; [unrolled: 3-line block ×5, first 2 shown]
	v_add_co_u32 v19, vcc_lo, v14, s6
	v_add_co_ci_u32_e32 v20, vcc_lo, s1, v15, vcc_lo
	v_add_co_u32 v17, vcc_lo, 0x1000, v25
	v_add_co_ci_u32_e32 v18, vcc_lo, 0, v26, vcc_lo
	global_load_dword v2, v[14:15], off
	global_load_dword v3, v[19:20], off
	s_clause 0x1
	global_load_dword v30, v[17:18], off offset:260
	global_load_dword v29, v[17:18], off offset:744
	v_and_b32_e32 v14, 0xff, v0
	v_cmp_eq_u32_e32 vcc_lo, 1, v13
	s_load_dwordx4 s[8:11], s[10:11], 0x0
	v_mul_lo_u16 v14, 0x75, v14
	v_cndmask_b32_e64 v23, 0, 0x14cc, vcc_lo
	v_lshrrev_b16 v14, 8, v14
	v_add_nc_u32_e32 v33, v23, v12
	v_sub_nc_u16 v15, v0, v14
	v_add_nc_u32_e32 v45, 0x200, v33
	v_add_nc_u32_e32 v43, 0x600, v33
	;; [unrolled: 1-line block ×4, first 2 shown]
	v_lshrrev_b16 v13, 1, v15
	v_and_b32_e32 v12, 0x7f, v13
	v_add_nc_u16 v12, v12, v14
	v_lshrrev_b16 v14, 3, v12
	s_waitcnt vmcnt(16)
	v_lshrrev_b32_e32 v13, 16, v10
	v_mul_f16_sdwa v15, v44, v10 dst_sel:DWORD dst_unused:UNUSED_PAD src0_sel:WORD_1 src1_sel:DWORD
	s_waitcnt vmcnt(15)
	v_lshrrev_b32_e32 v20, 16, v7
	v_mul_f16_sdwa v12, v42, v7 dst_sel:DWORD dst_unused:UNUSED_PAD src0_sel:WORD_1 src1_sel:DWORD
	v_mul_f16_sdwa v19, v44, v13 dst_sel:DWORD dst_unused:UNUSED_PAD src0_sel:WORD_1 src1_sel:DWORD
	v_fma_f16 v13, v44, v13, -v15
	v_fma_f16 v12, v42, v20, -v12
	v_fmac_f16_e32 v19, v44, v10
	v_mul_f16_sdwa v10, v42, v20 dst_sel:DWORD dst_unused:UNUSED_PAD src0_sel:WORD_1 src1_sel:DWORD
	v_pack_b32_f16 v13, v19, v13
	s_waitcnt vmcnt(14)
	v_lshrrev_b32_e32 v15, 16, v8
	v_fmac_f16_e32 v10, v42, v7
	s_waitcnt vmcnt(13)
	v_lshrrev_b32_e32 v19, 16, v6
	v_mul_f16_sdwa v21, v38, v6 dst_sel:DWORD dst_unused:UNUSED_PAD src0_sel:WORD_1 src1_sel:DWORD
	v_mul_f16_sdwa v20, v41, v8 dst_sel:DWORD dst_unused:UNUSED_PAD src0_sel:WORD_1 src1_sel:DWORD
	;; [unrolled: 1-line block ×3, first 2 shown]
	v_pack_b32_f16 v10, v10, v12
	v_fma_f16 v12, v38, v19, -v21
	v_fma_f16 v15, v41, v15, -v20
	v_fmac_f16_e32 v7, v41, v8
	v_mul_f16_sdwa v8, v38, v19 dst_sel:DWORD dst_unused:UNUSED_PAD src0_sel:WORD_1 src1_sel:DWORD
	s_waitcnt vmcnt(8)
	v_lshrrev_b32_e32 v19, 16, v11
	ds_write2_b32 v33, v13, v10 offset1:121
	v_mul_f16_sdwa v20, v37, v11 dst_sel:DWORD dst_unused:UNUSED_PAD src0_sel:WORD_1 src1_sel:DWORD
	v_pack_b32_f16 v7, v7, v15
	v_fmac_f16_e32 v8, v38, v6
	v_mul_f16_sdwa v6, v37, v19 dst_sel:DWORD dst_unused:UNUSED_PAD src0_sel:WORD_1 src1_sel:DWORD
	s_waitcnt vmcnt(7)
	v_lshrrev_b32_e32 v10, 16, v9
	v_mul_f16_sdwa v13, v35, v9 dst_sel:DWORD dst_unused:UNUSED_PAD src0_sel:WORD_1 src1_sel:DWORD
	v_fma_f16 v15, v37, v19, -v20
	v_pack_b32_f16 v8, v8, v12
	v_fmac_f16_e32 v6, v37, v11
	v_mul_f16_sdwa v11, v35, v10 dst_sel:DWORD dst_unused:UNUSED_PAD src0_sel:WORD_1 src1_sel:DWORD
	v_fma_f16 v10, v35, v10, -v13
	s_waitcnt vmcnt(6)
	v_lshrrev_b32_e32 v12, 16, v5
	v_mul_f16_sdwa v13, v34, v5 dst_sel:DWORD dst_unused:UNUSED_PAD src0_sel:WORD_1 src1_sel:DWORD
	v_pack_b32_f16 v6, v6, v15
	v_fmac_f16_e32 v11, v35, v9
	s_waitcnt vmcnt(5)
	v_lshrrev_b32_e32 v9, 16, v4
	v_mul_f16_sdwa v15, v34, v12 dst_sel:DWORD dst_unused:UNUSED_PAD src0_sel:WORD_1 src1_sel:DWORD
	v_fma_f16 v12, v34, v12, -v13
	v_mul_f16_sdwa v13, v32, v4 dst_sel:DWORD dst_unused:UNUSED_PAD src0_sel:WORD_1 src1_sel:DWORD
	v_pack_b32_f16 v10, v11, v10
	v_mul_f16_sdwa v11, v32, v9 dst_sel:DWORD dst_unused:UNUSED_PAD src0_sel:WORD_1 src1_sel:DWORD
	v_fmac_f16_e32 v15, v34, v5
	s_waitcnt vmcnt(4)
	v_lshrrev_b32_e32 v5, 16, v1
	v_fma_f16 v9, v32, v9, -v13
	v_mul_f16_sdwa v13, v31, v1 dst_sel:DWORD dst_unused:UNUSED_PAD src0_sel:WORD_1 src1_sel:DWORD
	v_fmac_f16_e32 v11, v32, v4
	s_waitcnt vmcnt(3)
	v_lshrrev_b32_e32 v4, 16, v2
	s_waitcnt vmcnt(2)
	v_lshrrev_b32_e32 v20, 16, v3
	v_mul_f16_sdwa v19, v31, v5 dst_sel:DWORD dst_unused:UNUSED_PAD src0_sel:WORD_1 src1_sel:DWORD
	v_fma_f16 v5, v31, v5, -v13
	s_waitcnt vmcnt(1)
	v_mul_f16_sdwa v13, v30, v2 dst_sel:DWORD dst_unused:UNUSED_PAD src0_sel:WORD_1 src1_sel:DWORD
	v_mul_f16_sdwa v21, v30, v4 dst_sel:DWORD dst_unused:UNUSED_PAD src0_sel:WORD_1 src1_sel:DWORD
	s_waitcnt vmcnt(0)
	v_mul_f16_sdwa v22, v29, v3 dst_sel:DWORD dst_unused:UNUSED_PAD src0_sel:WORD_1 src1_sel:DWORD
	v_mul_f16_sdwa v24, v29, v20 dst_sel:DWORD dst_unused:UNUSED_PAD src0_sel:WORD_1 src1_sel:DWORD
	v_fmac_f16_e32 v19, v31, v1
	v_fma_f16 v1, v30, v4, -v13
	v_fmac_f16_e32 v21, v30, v2
	v_fma_f16 v2, v29, v20, -v22
	v_fmac_f16_e32 v24, v29, v3
	v_pack_b32_f16 v3, v15, v12
	v_pack_b32_f16 v4, v11, v9
	v_pack_b32_f16 v5, v19, v5
	v_pack_b32_f16 v1, v21, v1
	v_pack_b32_f16 v2, v24, v2
	ds_write2_b32 v45, v7, v8 offset0:114 offset1:235
	ds_write2_b32 v43, v6, v10 offset0:100 offset1:221
	;; [unrolled: 1-line block ×4, first 2 shown]
	ds_write_b32 v33, v2 offset:4840
	v_mul_lo_u16 v7, v14, 11
	v_mov_b32_e32 v8, 10
	v_mul_lo_u16 v9, v0, 11
	s_waitcnt lgkmcnt(0)
	s_barrier
	v_sub_nc_u16 v24, v0, v7
	buffer_gl0_inv
	ds_read2_b32 v[1:2], v33 offset1:121
	ds_read_b32 v11, v33 offset:4840
	ds_read2_b32 v[3:4], v43 offset0:100 offset1:221
	ds_read2_b32 v[5:6], v39 offset0:86 offset1:207
	v_and_b32_e32 v0, 0xffff, v9
	v_mul_u32_u24_sdwa v12, v24, v8 dst_sel:DWORD dst_unused:UNUSED_PAD src0_sel:BYTE_0 src1_sel:DWORD
	ds_read2_b32 v[7:8], v45 offset0:114 offset1:235
	ds_read2_b32 v[9:10], v36 offset0:72 offset1:193
	s_waitcnt lgkmcnt(0)
	s_barrier
	v_lshl_add_u32 v46, v0, 2, v23
	v_lshlrev_b32_e32 v12, 2, v12
	buffer_gl0_inv
	v_add_f16_e32 v27, v2, v1
	v_add_f16_e32 v0, v11, v2
	v_add_f16_sdwa v13, v11, v2 dst_sel:DWORD dst_unused:UNUSED_PAD src0_sel:WORD_1 src1_sel:WORD_1
	v_sub_f16_e32 v15, v2, v11
	v_sub_f16_sdwa v19, v2, v11 dst_sel:DWORD dst_unused:UNUSED_PAD src0_sel:WORD_1 src1_sel:WORD_1
	v_add_f16_sdwa v2, v2, v1 dst_sel:DWORD dst_unused:UNUSED_PAD src0_sel:WORD_1 src1_sel:WORD_1
	v_add_f16_e32 v20, v6, v3
	v_sub_f16_e32 v22, v3, v6
	v_sub_f16_sdwa v28, v3, v6 dst_sel:DWORD dst_unused:UNUSED_PAD src0_sel:WORD_1 src1_sel:WORD_1
	v_add_f16_e32 v47, v5, v4
	v_sub_f16_e32 v49, v4, v5
	v_sub_f16_sdwa v50, v4, v5 dst_sel:DWORD dst_unused:UNUSED_PAD src0_sel:WORD_1 src1_sel:WORD_1
	;; [unrolled: 3-line block ×4, first 2 shown]
	v_mul_f16_e32 v59, 0xb853, v19
	v_mul_f16_e32 v60, 0xb853, v15
	;; [unrolled: 1-line block ×8, first 2 shown]
	v_add_f16_e32 v27, v27, v7
	v_add_f16_sdwa v2, v2, v7 dst_sel:DWORD dst_unused:UNUSED_PAD src0_sel:DWORD src1_sel:WORD_1
	v_pack_b32_f16 v15, v15, v0
	v_add_f16_sdwa v21, v6, v3 dst_sel:DWORD dst_unused:UNUSED_PAD src0_sel:WORD_1 src1_sel:WORD_1
	v_add_f16_sdwa v48, v5, v4 dst_sel:DWORD dst_unused:UNUSED_PAD src0_sel:WORD_1 src1_sel:WORD_1
	;; [unrolled: 1-line block ×4, first 2 shown]
	v_pack_b32_f16 v7, v13, v19
	v_mul_f16_e32 v19, 0xbb47, v54
	v_mul_f16_e32 v67, 0xba0c, v54
	v_mul_f16_e32 v68, 0x3482, v54
	v_mul_f16_e32 v69, 0x3beb, v54
	v_pack_b32_f16 v70, v53, v51
	v_mul_f16_e32 v71, 0xbb47, v53
	v_mul_f16_e32 v72, 0xba0c, v53
	v_mul_f16_e32 v73, 0x3482, v53
	v_mul_f16_e32 v53, 0x3beb, v53
	v_mul_f16_e32 v74, 0xbbeb, v58
	v_mul_f16_e32 v75, 0x3482, v58
	v_mul_f16_e32 v76, 0x3b47, v58
	v_mul_f16_e32 v77, 0xb853, v58
	v_pack_b32_f16 v78, v57, v55
	v_mul_f16_e32 v79, 0xbbeb, v57
	v_mul_f16_e32 v80, 0x3482, v57
	v_mul_f16_e32 v81, 0x3b47, v57
	v_mul_f16_e32 v57, 0xb853, v57
	;; [unrolled: 9-line block ×4, first 2 shown]
	v_fma_f16 v98, v0, 0x3abb, -v59
	v_fmamk_f16 v99, v13, 0x3abb, v60
	v_fmac_f16_e32 v59, 0x3abb, v0
	v_fma_f16 v60, v13, 0x3abb, -v60
	v_fma_f16 v100, v0, 0x36a6, -v61
	v_fmamk_f16 v101, v13, 0x36a6, v62
	v_fmac_f16_e32 v61, 0x36a6, v0
	v_fma_f16 v62, v13, 0x36a6, -v62
	;; [unrolled: 4-line block ×3, first 2 shown]
	v_fma_f16 v104, v0, 0xb93d, -v65
	v_fmamk_f16 v105, v13, 0xb93d, v66
	v_pk_mul_f16 v15, 0xbbadb482, v15
	v_fmac_f16_e32 v65, 0xb93d, v0
	v_fma_f16 v0, v13, 0xb93d, -v66
	v_add_f16_e32 v13, v27, v8
	v_add_f16_sdwa v2, v2, v8 dst_sel:DWORD dst_unused:UNUSED_PAD src0_sel:DWORD src1_sel:WORD_1
	v_pack_b32_f16 v54, v52, v54
	v_pack_b32_f16 v58, v56, v58
	;; [unrolled: 1-line block ×4, first 2 shown]
	v_fma_f16 v8, v51, 0x36a6, -v19
	v_fmac_f16_e32 v19, 0x36a6, v51
	v_fma_f16 v27, v51, 0xb93d, -v67
	v_fmac_f16_e32 v67, 0xb93d, v51
	v_fma_f16 v66, v51, 0xbbad, -v68
	v_fmac_f16_e32 v68, 0xbbad, v51
	v_fma_f16 v106, v51, 0xb08e, -v69
	v_fmac_f16_e32 v69, 0xb08e, v51
	v_fmamk_f16 v51, v52, 0x36a6, v71
	v_fma_f16 v71, v52, 0x36a6, -v71
	v_fmamk_f16 v107, v52, 0xb93d, v72
	v_fma_f16 v72, v52, 0xb93d, -v72
	v_fmamk_f16 v108, v52, 0xbbad, v73
	v_fma_f16 v73, v52, 0xbbad, -v73
	v_fmamk_f16 v109, v52, 0xb08e, v53
	v_fma_f16 v52, v52, 0xb08e, -v53
	v_fma_f16 v53, v55, 0xb08e, -v74
	v_fmac_f16_e32 v74, 0xb08e, v55
	v_fma_f16 v110, v55, 0xbbad, -v75
	v_fmac_f16_e32 v75, 0xbbad, v55
	v_fma_f16 v111, v55, 0x36a6, -v76
	v_fmac_f16_e32 v76, 0x36a6, v55
	v_fma_f16 v112, v55, 0x3abb, -v77
	v_fmac_f16_e32 v77, 0x3abb, v55
	v_fmamk_f16 v55, v56, 0xb08e, v79
	v_fma_f16 v79, v56, 0xb08e, -v79
	v_fmamk_f16 v113, v56, 0xbbad, v80
	v_fma_f16 v80, v56, 0xbbad, -v80
	v_fmamk_f16 v114, v56, 0x36a6, v81
	v_fma_f16 v81, v56, 0x36a6, -v81
	v_fmamk_f16 v115, v56, 0x3abb, v57
	v_fma_f16 v56, v56, 0x3abb, -v57
	;; [unrolled: 16-line block ×4, first 2 shown]
	v_pk_mul_f16 v49, 0x3abb3853, v70
	v_pk_mul_f16 v70, 0xb93dba0c, v78
	;; [unrolled: 1-line block ×4, first 2 shown]
	v_pk_fma_f16 v94, 0xb482bbad, v7, v15 neg_lo:[0,1,0] neg_hi:[0,1,0]
	v_pk_fma_f16 v128, 0xb482bbad, v7, v15
	v_pk_fma_f16 v7, 0xb482bbad, v7, v15 neg_lo:[0,0,1] neg_hi:[0,0,1]
	v_add_f16_e32 v13, v13, v3
	v_add_f16_sdwa v2, v2, v3 dst_sel:DWORD dst_unused:UNUSED_PAD src0_sel:DWORD src1_sel:WORD_1
	v_pk_fma_f16 v15, 0x38533abb, v54, v49 neg_lo:[0,1,0] neg_hi:[0,1,0]
	v_pk_fma_f16 v129, 0x38533abb, v54, v49
	v_pk_fma_f16 v49, 0x38533abb, v54, v49 neg_lo:[0,0,1] neg_hi:[0,0,1]
	v_pk_fma_f16 v54, 0xba0cb93d, v58, v70 neg_lo:[0,1,0] neg_hi:[0,1,0]
	v_pk_fma_f16 v130, 0xba0cb93d, v58, v70
	v_pk_fma_f16 v58, 0xba0cb93d, v58, v70 neg_lo:[0,0,1] neg_hi:[0,0,1]
	;; [unrolled: 3-line block ×3, first 2 shown]
	v_add_f16_e32 v3, v98, v1
	v_add_f16_sdwa v78, v99, v1 dst_sel:DWORD dst_unused:UNUSED_PAD src0_sel:DWORD src1_sel:WORD_1
	v_add_f16_e32 v59, v59, v1
	v_add_f16_e32 v98, v100, v1
	v_add_f16_sdwa v99, v101, v1 dst_sel:DWORD dst_unused:UNUSED_PAD src0_sel:DWORD src1_sel:WORD_1
	v_add_f16_sdwa v60, v60, v1 dst_sel:DWORD dst_unused:UNUSED_PAD src0_sel:DWORD src1_sel:WORD_1
	v_add_f16_e32 v61, v61, v1
	v_add_f16_sdwa v62, v62, v1 dst_sel:DWORD dst_unused:UNUSED_PAD src0_sel:DWORD src1_sel:WORD_1
	v_add_f16_e32 v100, v102, v1
	;; [unrolled: 2-line block ×5, first 2 shown]
	v_add_f16_sdwa v0, v0, v1 dst_sel:DWORD dst_unused:UNUSED_PAD src0_sel:DWORD src1_sel:WORD_1
	v_pk_fma_f16 v104, 0xbbebb08e, v50, v86 neg_lo:[0,1,0] neg_hi:[0,1,0]
	v_pk_fma_f16 v105, 0xbbebb08e, v50, v86
	v_pk_fma_f16 v50, 0xbbebb08e, v50, v86 neg_lo:[0,0,1] neg_hi:[0,0,1]
	v_pk_add_f16 v86, v94, v1 op_sel:[0,1] op_sel_hi:[1,0]
	v_pk_add_f16 v94, v128, v1 op_sel:[0,1] op_sel_hi:[1,0]
	;; [unrolled: 1-line block ×3, first 2 shown]
	v_add_f16_e32 v7, v13, v4
	v_add_f16_sdwa v2, v2, v4 dst_sel:DWORD dst_unused:UNUSED_PAD src0_sel:DWORD src1_sel:WORD_1
	v_add_f16_e32 v3, v8, v3
	v_add_f16_e32 v4, v51, v78
	;; [unrolled: 1-line block ×6, first 2 shown]
	v_add_f16_sdwa v2, v2, v5 dst_sel:DWORD dst_unused:UNUSED_PAD src0_sel:DWORD src1_sel:WORD_1
	v_add_f16_e32 v13, v71, v60
	v_add_f16_e32 v51, v67, v61
	v_add_f16_e32 v59, v72, v62
	v_add_f16_e32 v60, v66, v100
	v_add_f16_e32 v61, v108, v101
	v_add_f16_e32 v62, v68, v63
	v_add_f16_e32 v63, v73, v64
	v_add_f16_e32 v64, v106, v102
	v_add_f16_e32 v66, v109, v103
	v_add_f16_e32 v65, v69, v65
	v_add_f16_e32 v0, v52, v0
	v_pk_add_f16 v5, v15, v86
	v_pk_add_f16 v15, v129, v94
	v_pk_add_f16 v1, v49, v1
	v_add_f16_e32 v3, v53, v3
	v_add_f16_e32 v4, v55, v4
	v_add_f16_e32 v19, v110, v19
	v_add_f16_e32 v27, v113, v27
	v_add_f16_e32 v7, v7, v6
	v_add_f16_sdwa v2, v2, v6 dst_sel:DWORD dst_unused:UNUSED_PAD src0_sel:DWORD src1_sel:WORD_1
	v_add_f16_e32 v49, v75, v51
	v_add_f16_e32 v51, v80, v59
	v_add_f16_e32 v52, v111, v60
	v_add_f16_e32 v53, v114, v61
	v_add_f16_e32 v55, v76, v62
	v_add_f16_e32 v60, v112, v64
	v_add_f16_e32 v61, v115, v66
	v_add_f16_e32 v59, v81, v63
	v_add_f16_e32 v62, v77, v65
	v_add_f16_e32 v0, v56, v0
	v_add_f16_e32 v8, v74, v8
	v_add_f16_e32 v13, v79, v13
	v_pk_add_f16 v5, v54, v5
	v_pk_add_f16 v6, v130, v15
	v_pk_add_f16 v1, v58, v1
	v_add_f16_e32 v3, v57, v3
	v_add_f16_e32 v4, v20, v4
	v_add_f16_e32 v15, v116, v19
	v_add_f16_e32 v19, v119, v27
	v_add_f16_e32 v7, v7, v9
	v_add_f16_sdwa v2, v2, v9 dst_sel:DWORD dst_unused:UNUSED_PAD src0_sel:DWORD src1_sel:WORD_1
	v_add_f16_e32 v20, v83, v49
	;; [unrolled: 21-line block ×3, first 2 shown]
	v_add_f16_e32 v22, v123, v49
	v_add_f16_e32 v27, v126, v51
	;; [unrolled: 1-line block ×11, first 2 shown]
	v_pk_add_f16 v5, v104, v5
	v_pk_add_f16 v6, v105, v6
	;; [unrolled: 1-line block ×3, first 2 shown]
	v_pack_b32_f16 v10, v15, v19
	v_pack_b32_f16 v3, v3, v4
	v_add_f16_e32 v7, v7, v11
	v_add_f16_sdwa v2, v2, v11 dst_sel:WORD_1 dst_unused:UNUSED_PAD src0_sel:DWORD src1_sel:WORD_1
	v_pack_b32_f16 v4, v47, v49
	v_pack_b32_f16 v15, v22, v27
	;; [unrolled: 1-line block ×6, first 2 shown]
	ds_write2_b32 v46, v3, v10 offset0:1 offset1:2
	v_alignbit_b32 v1, v1, v6, 16
	v_alignbit_b32 v3, v6, v5, 16
	v_or_b32_sdwa v2, v2, v7 dst_sel:DWORD dst_unused:UNUSED_PAD src0_sel:DWORD src1_sel:WORD_0
	ds_write2_b32 v46, v15, v4 offset0:3 offset1:4
	ds_write2_b32 v46, v0, v9 offset0:7 offset1:8
	;; [unrolled: 1-line block ×4, first 2 shown]
	ds_write_b32 v46, v2
	s_waitcnt lgkmcnt(0)
	s_barrier
	buffer_gl0_inv
	s_clause 0x2
	global_load_dwordx4 v[0:3], v12, s[2:3]
	global_load_dwordx2 v[19:20], v12, s[2:3] offset:32
	global_load_dwordx4 v[4:7], v12, s[2:3] offset:16
	v_mov_b32_e32 v15, 0x79
	ds_read2_b32 v[8:9], v33 offset1:121
	ds_read_b32 v27, v33 offset:4840
	ds_read2_b32 v[10:11], v45 offset0:114 offset1:235
	ds_read2_b32 v[12:13], v43 offset0:100 offset1:221
	v_mad_u64_u32 v[48:49], null, v40, 40, s[2:3]
	s_mov_b32 s2, 0x3fdb1246
	v_mul_u32_u24_sdwa v28, v14, v15 dst_sel:DWORD dst_unused:UNUSED_PAD src0_sel:WORD_0 src1_sel:DWORD
	ds_read2_b32 v[21:22], v39 offset0:86 offset1:207
	ds_read2_b32 v[14:15], v36 offset0:72 offset1:193
	s_waitcnt vmcnt(0) lgkmcnt(0)
	s_barrier
	buffer_gl0_inv
	v_add_nc_u32_sdwa v24, v28, v24 dst_sel:DWORD dst_unused:UNUSED_PAD src0_sel:DWORD src1_sel:BYTE_0
	s_mov_b32 s3, 0x3f489e7c
	v_lshl_add_u32 v47, v24, 2, v23
	v_lshrrev_b32_e32 v23, 16, v9
	v_lshrrev_b32_e32 v24, 16, v27
	;; [unrolled: 1-line block ×10, first 2 shown]
	v_mul_f16_sdwa v57, v23, v0 dst_sel:DWORD dst_unused:UNUSED_PAD src0_sel:DWORD src1_sel:WORD_1
	v_mul_f16_sdwa v58, v9, v0 dst_sel:DWORD dst_unused:UNUSED_PAD src0_sel:DWORD src1_sel:WORD_1
	;; [unrolled: 1-line block ×7, first 2 shown]
	v_fma_f16 v9, v9, v0, -v57
	v_fmac_f16_e32 v58, v23, v0
	v_fma_f16 v23, v27, v20, -v60
	v_mul_f16_sdwa v59, v27, v20 dst_sel:DWORD dst_unused:UNUSED_PAD src0_sel:DWORD src1_sel:WORD_1
	v_mul_f16_sdwa v62, v50, v2 dst_sel:DWORD dst_unused:UNUSED_PAD src0_sel:DWORD src1_sel:WORD_1
	;; [unrolled: 1-line block ×7, first 2 shown]
	v_fma_f16 v10, v10, v1, -v61
	v_fma_f16 v15, v15, v19, -v74
	v_fmac_f16_e32 v63, v28, v1
	v_fmac_f16_e32 v67, v51, v3
	v_sub_f16_e32 v27, v9, v23
	v_add_f16_e32 v28, v9, v23
	v_add_f16_e32 v9, v9, v8
	v_add_f16_sdwa v51, v58, v8 dst_sel:DWORD dst_unused:UNUSED_PAD src0_sel:DWORD src1_sel:WORD_1
	v_mul_f16_sdwa v66, v52, v4 dst_sel:DWORD dst_unused:UNUSED_PAD src0_sel:DWORD src1_sel:WORD_1
	v_mul_f16_sdwa v68, v13, v4 dst_sel:DWORD dst_unused:UNUSED_PAD src0_sel:DWORD src1_sel:WORD_1
	v_mul_f16_sdwa v69, v53, v5 dst_sel:DWORD dst_unused:UNUSED_PAD src0_sel:DWORD src1_sel:WORD_1
	v_mul_f16_sdwa v70, v54, v6 dst_sel:DWORD dst_unused:UNUSED_PAD src0_sel:DWORD src1_sel:WORD_1
	v_mul_f16_sdwa v73, v55, v7 dst_sel:DWORD dst_unused:UNUSED_PAD src0_sel:DWORD src1_sel:WORD_1
	v_mul_f16_sdwa v76, v14, v7 dst_sel:DWORD dst_unused:UNUSED_PAD src0_sel:DWORD src1_sel:WORD_1
	v_fmac_f16_e32 v59, v24, v20
	v_fma_f16 v11, v11, v2, -v62
	v_fmac_f16_e32 v64, v50, v2
	v_fmac_f16_e32 v71, v53, v5
	;; [unrolled: 1-line block ×3, first 2 shown]
	v_add_f16_e32 v53, v10, v15
	v_sub_f16_e32 v54, v10, v15
	v_add_f16_e32 v9, v9, v10
	v_add_f16_e32 v10, v51, v63
	v_fma_f16 v12, v12, v3, -v65
	v_fma_f16 v13, v13, v4, -v66
	;; [unrolled: 1-line block ×5, first 2 shown]
	v_fmac_f16_e32 v75, v56, v19
	v_fmac_f16_e32 v68, v52, v4
	;; [unrolled: 1-line block ×3, first 2 shown]
	v_sub_f16_e32 v24, v58, v59
	v_add_f16_e32 v9, v9, v11
	v_add_f16_e32 v10, v10, v64
	;; [unrolled: 1-line block ×3, first 2 shown]
	v_sub_f16_e32 v52, v63, v75
	v_sub_f16_e32 v56, v64, v76
	;; [unrolled: 1-line block ×7, first 2 shown]
	v_mul_f16_e32 v77, 0xb853, v24
	v_mul_f16_e32 v78, 0xb853, v27
	;; [unrolled: 1-line block ×10, first 2 shown]
	v_add_f16_e32 v9, v9, v12
	v_add_f16_e32 v10, v10, v67
	;; [unrolled: 1-line block ×9, first 2 shown]
	v_mul_f16_e32 v85, 0xbb47, v52
	v_mul_f16_e32 v86, 0xba0c, v52
	;; [unrolled: 1-line block ×40, first 2 shown]
	v_fma_f16 v115, v28, 0x3abb, -v77
	v_fmac_f16_e32 v77, 0x3abb, v28
	v_fma_f16 v116, v28, 0x36a6, -v79
	v_fmac_f16_e32 v79, 0x36a6, v28
	;; [unrolled: 2-line block ×5, first 2 shown]
	v_fmamk_f16 v28, v50, 0x3abb, v78
	v_fma_f16 v78, v50, 0x3abb, -v78
	v_fmamk_f16 v120, v50, 0x36a6, v80
	v_fma_f16 v80, v50, 0x36a6, -v80
	;; [unrolled: 2-line block ×5, first 2 shown]
	v_add_f16_e32 v9, v9, v13
	v_add_f16_e32 v10, v10, v68
	v_fma_f16 v50, v53, 0x36a6, -v85
	v_fmac_f16_e32 v85, 0x36a6, v53
	v_fma_f16 v124, v53, 0xb93d, -v86
	v_fmac_f16_e32 v86, 0xb93d, v53
	v_fma_f16 v125, v53, 0xbbad, -v87
	v_fmac_f16_e32 v87, 0xbbad, v53
	v_fma_f16 v126, v53, 0xb08e, -v88
	v_fmac_f16_e32 v88, 0xb08e, v53
	v_fma_f16 v127, v53, 0x3abb, -v52
	v_fmac_f16_e32 v52, 0x3abb, v53
	v_fmamk_f16 v53, v55, 0x36a6, v51
	v_fma_f16 v51, v55, 0x36a6, -v51
	v_fmamk_f16 v128, v55, 0xb93d, v63
	v_fma_f16 v63, v55, 0xb93d, -v63
	v_fmamk_f16 v129, v55, 0xbbad, v89
	v_fma_f16 v89, v55, 0xbbad, -v89
	v_fmamk_f16 v130, v55, 0xb08e, v90
	v_fma_f16 v90, v55, 0xb08e, -v90
	v_fmamk_f16 v131, v55, 0x3abb, v54
	v_fma_f16 v54, v55, 0x3abb, -v54
	v_fma_f16 v55, v57, 0xb08e, -v91
	v_fmac_f16_e32 v91, 0xb08e, v57
	v_fma_f16 v132, v57, 0xbbad, -v92
	v_fmac_f16_e32 v92, 0xbbad, v57
	v_fma_f16 v133, v57, 0x36a6, -v93
	v_fmac_f16_e32 v93, 0x36a6, v57
	v_fma_f16 v134, v57, 0x3abb, -v94
	v_fmac_f16_e32 v94, 0x3abb, v57
	v_fma_f16 v135, v57, 0xb93d, -v56
	v_fmac_f16_e32 v56, 0xb93d, v57
	v_fmamk_f16 v11, v60, 0xb08e, v95
	v_fma_f16 v57, v60, 0xb08e, -v95
	v_fmamk_f16 v64, v60, 0xbbad, v96
	v_fma_f16 v95, v60, 0xbbad, -v96
	v_fmamk_f16 v96, v60, 0x36a6, v97
	v_fma_f16 v97, v60, 0x36a6, -v97
	v_fmamk_f16 v136, v60, 0x3abb, v98
	v_fma_f16 v98, v60, 0x3abb, -v98
	v_fmamk_f16 v137, v60, 0xb93d, v58
	v_fma_f16 v58, v60, 0xb93d, -v58
	;; [unrolled: 20-line block ×4, first 2 shown]
	v_add_f16_e32 v74, v115, v8
	v_add_f16_sdwa v28, v28, v8 dst_sel:DWORD dst_unused:UNUSED_PAD src0_sel:DWORD src1_sel:WORD_1
	v_add_f16_e32 v77, v77, v8
	v_add_f16_sdwa v78, v78, v8 dst_sel:DWORD dst_unused:UNUSED_PAD src0_sel:DWORD src1_sel:WORD_1
	;; [unrolled: 2-line block ×10, first 2 shown]
	v_add_f16_e32 v9, v9, v21
	v_add_f16_e32 v10, v10, v71
	;; [unrolled: 1-line block ×89, first 2 shown]
	v_add_f16_sdwa v10, v10, v59 dst_sel:WORD_1 dst_unused:UNUSED_PAD src0_sel:DWORD src1_sel:DWORD
	v_pack_b32_f16 v11, v13, v11
	v_pack_b32_f16 v13, v22, v27
	;; [unrolled: 1-line block ×10, first 2 shown]
	v_or_b32_sdwa v9, v10, v9 dst_sel:DWORD dst_unused:UNUSED_PAD src0_sel:DWORD src1_sel:WORD_0
	ds_write2_b32 v47, v13, v15 offset0:22 offset1:33
	ds_write2_b32 v47, v22, v12 offset0:44 offset1:55
	;; [unrolled: 1-line block ×4, first 2 shown]
	ds_write_b32 v47, v14 offset:440
	ds_write2_b32 v47, v9, v11 offset1:11
	s_waitcnt lgkmcnt(0)
	s_barrier
	buffer_gl0_inv
	s_clause 0x2
	global_load_dwordx4 v[8:11], v[48:49], off offset:440
	global_load_dwordx2 v[21:22], v[48:49], off offset:472
	global_load_dwordx4 v[12:15], v[48:49], off offset:456
	ds_read2_b32 v[23:24], v33 offset1:121
	ds_read_b32 v48, v33 offset:4840
	ds_read2_b32 v[57:58], v45 offset0:114 offset1:235
	ds_read2_b32 v[61:62], v43 offset0:100 offset1:221
	;; [unrolled: 1-line block ×4, first 2 shown]
	s_waitcnt lgkmcnt(5)
	v_lshrrev_b32_e32 v50, 16, v24
	s_waitcnt lgkmcnt(4)
	v_lshrrev_b32_e32 v52, 16, v48
	;; [unrolled: 2-line block ×3, first 2 shown]
	v_lshrrev_b32_e32 v69, 16, v58
	s_waitcnt lgkmcnt(2)
	v_lshrrev_b32_e32 v70, 16, v61
	s_waitcnt lgkmcnt(1)
	v_lshrrev_b32_e32 v72, 16, v64
	v_lshrrev_b32_e32 v73, 16, v65
	s_waitcnt lgkmcnt(0)
	v_lshrrev_b32_e32 v74, 16, v66
	v_lshrrev_b32_e32 v75, 16, v67
	;; [unrolled: 1-line block ×3, first 2 shown]
	s_waitcnt vmcnt(2)
	v_mul_f16_sdwa v76, v24, v8 dst_sel:DWORD dst_unused:UNUSED_PAD src0_sel:DWORD src1_sel:WORD_1
	s_waitcnt vmcnt(1)
	v_mul_f16_sdwa v27, v48, v22 dst_sel:DWORD dst_unused:UNUSED_PAD src0_sel:DWORD src1_sel:WORD_1
	v_mul_f16_sdwa v54, v50, v8 dst_sel:DWORD dst_unused:UNUSED_PAD src0_sel:DWORD src1_sel:WORD_1
	;; [unrolled: 1-line block ×9, first 2 shown]
	s_waitcnt vmcnt(0)
	v_mul_f16_sdwa v55, v62, v12 dst_sel:DWORD dst_unused:UNUSED_PAD src0_sel:DWORD src1_sel:WORD_1
	v_mul_f16_sdwa v81, v72, v13 dst_sel:DWORD dst_unused:UNUSED_PAD src0_sel:DWORD src1_sel:WORD_1
	;; [unrolled: 1-line block ×9, first 2 shown]
	v_fmac_f16_e32 v76, v50, v8
	v_fmac_f16_e32 v27, v52, v22
	v_fma_f16 v85, v24, v8, -v54
	v_fma_f16 v24, v48, v22, -v60
	v_mul_f16_sdwa v80, v71, v12 dst_sel:DWORD dst_unused:UNUSED_PAD src0_sel:DWORD src1_sel:WORD_1
	v_fma_f16 v77, v57, v9, -v77
	v_fma_f16 v60, v58, v10, -v78
	v_fma_f16 v58, v61, v11, -v79
	v_fma_f16 v54, v64, v13, -v81
	v_fma_f16 v52, v65, v14, -v82
	v_fma_f16 v50, v66, v15, -v83
	v_fma_f16 v48, v67, v21, -v84
	v_fmac_f16_e32 v63, v68, v9
	v_fmac_f16_e32 v59, v69, v10
	v_fmac_f16_e32 v56, v70, v11
	v_fmac_f16_e32 v28, v75, v21
	v_fmac_f16_e32 v55, v71, v12
	v_fmac_f16_e32 v53, v72, v13
	v_fmac_f16_e32 v51, v73, v14
	v_fmac_f16_e32 v49, v74, v15
	v_sub_f16_e32 v64, v76, v27
	v_sub_f16_e32 v65, v85, v24
	v_add_f16_e32 v66, v85, v23
	v_add_f16_sdwa v67, v76, v23 dst_sel:DWORD dst_unused:UNUSED_PAD src0_sel:DWORD src1_sel:WORD_1
	v_fma_f16 v57, v62, v12, -v80
	v_add_f16_e32 v62, v85, v24
	v_add_f16_e32 v61, v76, v27
	v_sub_f16_e32 v68, v63, v28
	v_sub_f16_e32 v70, v77, v48
	v_add_f16_e32 v71, v63, v28
	v_sub_f16_e32 v72, v59, v49
	v_sub_f16_e32 v74, v60, v50
	;; [unrolled: 1-line block ×5, first 2 shown]
	v_mul_f16_e32 v85, 0xb853, v64
	v_mul_f16_e32 v86, 0xbb47, v64
	;; [unrolled: 1-line block ×10, first 2 shown]
	v_add_f16_e32 v66, v66, v77
	v_add_f16_e32 v63, v67, v63
	;; [unrolled: 1-line block ×8, first 2 shown]
	v_sub_f16_e32 v83, v57, v54
	v_mul_f16_e32 v93, 0xbb47, v68
	v_mul_f16_e32 v94, 0xba0c, v68
	;; [unrolled: 1-line block ×35, first 2 shown]
	v_fma_f16 v121, v62, 0x3abb, -v85
	v_fmac_f16_e32 v85, 0x3abb, v62
	v_fma_f16 v122, v62, 0x36a6, -v86
	v_fmac_f16_e32 v86, 0x36a6, v62
	;; [unrolled: 2-line block ×5, first 2 shown]
	v_fmamk_f16 v62, v61, 0x3abb, v89
	v_fma_f16 v89, v61, 0x3abb, -v89
	v_fmamk_f16 v126, v61, 0x36a6, v90
	v_fma_f16 v90, v61, 0x36a6, -v90
	v_fmamk_f16 v127, v61, 0xb08e, v91
	v_fma_f16 v91, v61, 0xb08e, -v91
	v_fmamk_f16 v128, v61, 0xb93d, v92
	v_fma_f16 v92, v61, 0xb93d, -v92
	v_fmamk_f16 v129, v61, 0xbbad, v65
	v_fma_f16 v61, v61, 0xbbad, -v65
	v_add_f16_e32 v60, v66, v60
	v_add_f16_e32 v59, v63, v59
	;; [unrolled: 1-line block ×3, first 2 shown]
	v_mul_f16_e32 v119, 0xb482, v83
	v_mul_f16_e32 v120, 0x3853, v83
	v_fma_f16 v65, v69, 0x36a6, -v93
	v_fmac_f16_e32 v93, 0x36a6, v69
	v_fma_f16 v130, v69, 0xb93d, -v94
	v_fmac_f16_e32 v94, 0xb93d, v69
	v_fma_f16 v131, v69, 0xbbad, -v95
	v_fmac_f16_e32 v95, 0xbbad, v69
	v_fma_f16 v132, v69, 0xb08e, -v96
	v_fmac_f16_e32 v96, 0xb08e, v69
	v_fma_f16 v133, v69, 0x3abb, -v68
	v_fmac_f16_e32 v68, 0x3abb, v69
	v_fmamk_f16 v69, v71, 0x36a6, v67
	v_fma_f16 v67, v71, 0x36a6, -v67
	v_fmamk_f16 v134, v71, 0xb93d, v77
	v_fma_f16 v77, v71, 0xb93d, -v77
	v_fmamk_f16 v135, v71, 0xbbad, v97
	v_fma_f16 v97, v71, 0xbbad, -v97
	v_fmamk_f16 v136, v71, 0xb08e, v98
	v_fma_f16 v98, v71, 0xb08e, -v98
	v_fmamk_f16 v137, v71, 0x3abb, v70
	v_fma_f16 v70, v71, 0x3abb, -v70
	v_fma_f16 v71, v73, 0xb08e, -v99
	v_fmac_f16_e32 v99, 0xb08e, v73
	v_fma_f16 v138, v73, 0xbbad, -v100
	v_fmac_f16_e32 v100, 0xbbad, v73
	v_fma_f16 v139, v73, 0x36a6, -v101
	v_fmac_f16_e32 v101, 0x36a6, v73
	v_fma_f16 v140, v73, 0x3abb, -v102
	v_fmac_f16_e32 v102, 0x3abb, v73
	v_fma_f16 v141, v73, 0xb93d, -v72
	v_fmac_f16_e32 v72, 0xb93d, v73
	v_fmamk_f16 v63, v75, 0xb08e, v103
	v_fma_f16 v66, v75, 0xb08e, -v103
	v_fmamk_f16 v73, v75, 0xbbad, v104
	v_fma_f16 v103, v75, 0xbbad, -v104
	v_fmamk_f16 v104, v75, 0x36a6, v105
	v_fma_f16 v105, v75, 0x36a6, -v105
	v_fmamk_f16 v142, v75, 0x3abb, v106
	v_fma_f16 v106, v75, 0x3abb, -v106
	v_fmamk_f16 v143, v75, 0xb93d, v74
	v_fma_f16 v74, v75, 0xb93d, -v74
	;; [unrolled: 20-line block ×3, first 2 shown]
	v_fma_f16 v80, v82, 0xbbad, -v115
	v_fmac_f16_e32 v115, 0xbbad, v82
	v_fma_f16 v152, v82, 0x3abb, -v116
	v_fmac_f16_e32 v116, 0x3abb, v82
	;; [unrolled: 2-line block ×3, first 2 shown]
	v_add_f16_e32 v121, v121, v23
	v_add_f16_sdwa v62, v62, v23 dst_sel:DWORD dst_unused:UNUSED_PAD src0_sel:DWORD src1_sel:WORD_1
	v_add_f16_e32 v85, v85, v23
	v_add_f16_sdwa v89, v89, v23 dst_sel:DWORD dst_unused:UNUSED_PAD src0_sel:DWORD src1_sel:WORD_1
	;; [unrolled: 2-line block ×10, first 2 shown]
	v_fma_f16 v61, v82, 0x36a6, -v118
	v_fmac_f16_e32 v118, 0x36a6, v82
	v_fma_f16 v154, v82, 0xb08e, -v81
	v_fmac_f16_e32 v81, 0xb08e, v82
	v_mul_f16_e32 v82, 0xba0c, v83
	v_add_f16_e32 v58, v60, v58
	v_mul_f16_e32 v60, 0x3b47, v83
	v_mul_f16_e32 v83, 0xbbeb, v83
	v_add_f16_e32 v56, v59, v56
	v_fmamk_f16 v59, v84, 0xbbad, v119
	v_fma_f16 v119, v84, 0xbbad, -v119
	v_fmamk_f16 v155, v84, 0x3abb, v120
	v_fma_f16 v120, v84, 0x3abb, -v120
	;; [unrolled: 2-line block ×5, first 2 shown]
	v_add_f16_e32 v84, v58, v57
	v_add_f16_e32 v159, v56, v55
	;; [unrolled: 1-line block ×73, first 2 shown]
	v_add_f16_sdwa v27, v28, v27 dst_sel:WORD_1 dst_unused:UNUSED_PAD src0_sel:DWORD src1_sel:DWORD
	v_add_f16_e32 v53, v115, v62
	v_add_f16_e32 v54, v119, v63
	;; [unrolled: 1-line block ×18, first 2 shown]
	v_add_co_u32 v55, vcc_lo, 0x14cc, v25
	v_pack_b32_f16 v49, v51, v52
	v_or_b32_sdwa v24, v27, v24 dst_sel:DWORD dst_unused:UNUSED_PAD src0_sel:DWORD src1_sel:WORD_0
	v_add_co_ci_u32_e32 v56, vcc_lo, 0, v26, vcc_lo
	v_pack_b32_f16 v50, v59, v62
	v_pack_b32_f16 v28, v66, v67
	v_add_co_u32 v57, vcc_lo, 0x1800, v25
	v_pack_b32_f16 v48, v61, v70
	v_pack_b32_f16 v51, v72, v73
	;; [unrolled: 1-line block ×4, first 2 shown]
	v_add_co_ci_u32_e32 v58, vcc_lo, 0, v26, vcc_lo
	v_pack_b32_f16 v52, v68, v69
	v_pack_b32_f16 v59, v63, v65
	;; [unrolled: 1-line block ×3, first 2 shown]
	ds_write2_b32 v33, v24, v49 offset1:121
	ds_write2_b32 v45, v50, v28 offset0:114 offset1:235
	ds_write2_b32 v43, v48, v51 offset0:100 offset1:221
	;; [unrolled: 1-line block ×4, first 2 shown]
	ds_write_b32 v33, v53 offset:4840
	s_waitcnt lgkmcnt(0)
	s_barrier
	buffer_gl0_inv
	s_clause 0x3
	global_load_dword v48, v[17:18], off offset:1228
	global_load_dword v53, v[55:56], off offset:484
	;; [unrolled: 1-line block ×4, first 2 shown]
	v_add_co_u32 v17, vcc_lo, 0x2000, v25
	v_add_co_ci_u32_e32 v18, vcc_lo, 0, v26, vcc_lo
	s_clause 0x6
	global_load_dword v55, v[55:56], off offset:1936
	global_load_dword v56, v[57:58], off offset:1600
	;; [unrolled: 1-line block ×7, first 2 shown]
	ds_read2_b32 v[17:18], v33 offset1:121
	ds_read2_b32 v[23:24], v45 offset0:114 offset1:235
	ds_read2_b32 v[25:26], v43 offset0:100 offset1:221
	;; [unrolled: 1-line block ×4, first 2 shown]
	ds_read_b32 v63, v33 offset:4840
	v_mov_b32_e32 v49, 0xb853
	v_mov_b32_e32 v50, 0x3abb
	s_waitcnt lgkmcnt(5)
	v_lshrrev_b32_e32 v64, 16, v17
	v_lshrrev_b32_e32 v65, 16, v18
	s_waitcnt lgkmcnt(4)
	v_lshrrev_b32_e32 v66, 16, v23
	v_lshrrev_b32_e32 v67, 16, v24
	;; [unrolled: 3-line block ×5, first 2 shown]
	s_waitcnt lgkmcnt(0)
	v_lshrrev_b32_e32 v74, 16, v63
	s_waitcnt vmcnt(10)
	v_mul_f16_sdwa v75, v17, v48 dst_sel:DWORD dst_unused:UNUSED_PAD src0_sel:DWORD src1_sel:WORD_1
	v_mul_f16_sdwa v76, v64, v48 dst_sel:DWORD dst_unused:UNUSED_PAD src0_sel:DWORD src1_sel:WORD_1
	s_waitcnt vmcnt(9)
	v_mul_f16_sdwa v77, v65, v53 dst_sel:DWORD dst_unused:UNUSED_PAD src0_sel:DWORD src1_sel:WORD_1
	v_mul_f16_sdwa v78, v18, v53 dst_sel:DWORD dst_unused:UNUSED_PAD src0_sel:DWORD src1_sel:WORD_1
	;; [unrolled: 3-line block ×11, first 2 shown]
	v_fmac_f16_e32 v75, v64, v48
	v_fma_f16 v17, v17, v48, -v76
	v_fma_f16 v18, v18, v53, -v77
	v_fmac_f16_e32 v78, v65, v53
	v_fmac_f16_e32 v79, v66, v54
	v_fma_f16 v23, v23, v54, -v80
	v_fma_f16 v24, v24, v59, -v81
	v_fmac_f16_e32 v82, v67, v59
	;; [unrolled: 4-line block ×5, first 2 shown]
	v_fma_f16 v52, v63, v62, -v95
	v_fmac_f16_e32 v96, v74, v62
	v_pack_b32_f16 v17, v17, v75
	v_pack_b32_f16 v18, v18, v78
	v_pack_b32_f16 v23, v23, v79
	v_pack_b32_f16 v24, v24, v82
	v_pack_b32_f16 v25, v25, v83
	v_pack_b32_f16 v26, v26, v86
	v_pack_b32_f16 v27, v27, v87
	v_pack_b32_f16 v28, v28, v90
	v_pack_b32_f16 v48, v48, v91
	v_pack_b32_f16 v51, v51, v94
	v_pack_b32_f16 v52, v52, v96
	ds_write2_b32 v33, v17, v18 offset1:121
	ds_write2_b32 v45, v23, v24 offset0:114 offset1:235
	ds_write2_b32 v43, v25, v26 offset0:100 offset1:221
	;; [unrolled: 1-line block ×4, first 2 shown]
	ds_write_b32 v33, v52 offset:4840
	s_waitcnt lgkmcnt(0)
	s_barrier
	buffer_gl0_inv
	ds_read2_b32 v[23:24], v33 offset1:121
	ds_read_b32 v48, v33 offset:4840
	ds_read2_b32 v[55:56], v45 offset0:114 offset1:235
	ds_read2_b32 v[27:28], v36 offset0:72 offset1:193
	;; [unrolled: 1-line block ×4, first 2 shown]
	v_mov_b32_e32 v54, 0xbb47
	v_mov_b32_e32 v53, 0xbbeb
	;; [unrolled: 1-line block ×12, first 2 shown]
	s_waitcnt lgkmcnt(0)
	s_barrier
	v_alignbit_b32 v67, s0, v24, 16
	v_pk_add_f16 v65, v24, v48 neg_lo:[0,1] neg_hi:[0,1]
	v_pk_add_f16 v66, v48, v24
	v_pk_add_f16 v24, v24, v23 op_sel_hi:[1,0]
	v_alignbit_b32 v74, s0, v55, 16
	v_pk_add_f16 v67, v67, v23 op_sel:[0,1] op_sel_hi:[1,0]
	v_alignbit_b32 v75, s0, v56, 16
	v_pk_add_f16 v78, v27, v56
	v_pk_add_f16 v24, v24, v55
	v_pk_add_f16 v79, v56, v27 neg_lo:[0,1] neg_hi:[0,1]
	v_alignbit_b32 v68, s0, v25, 16
	v_pk_add_f16 v70, v18, v25
	v_pk_add_f16 v71, v25, v18 neg_lo:[0,1] neg_hi:[0,1]
	v_pk_add_f16 v24, v24, v56
	v_pk_add_f16 v56, v67, v74
	;; [unrolled: 1-line block ×3, first 2 shown]
	v_pk_add_f16 v73, v26, v17 neg_lo:[0,1] neg_hi:[0,1]
	v_pk_add_f16 v76, v28, v55
	v_pk_add_f16 v24, v24, v25
	;; [unrolled: 1-line block ×3, first 2 shown]
	v_pk_add_f16 v77, v55, v28 neg_lo:[0,1] neg_hi:[0,1]
	v_mul_f16_sdwa v85, v65, v49 dst_sel:DWORD dst_unused:UNUSED_PAD src0_sel:WORD_1 src1_sel:DWORD
	v_mul_f16_sdwa v86, v65, v54 dst_sel:DWORD dst_unused:UNUSED_PAD src0_sel:WORD_1 src1_sel:DWORD
	;; [unrolled: 1-line block ×8, first 2 shown]
	v_pk_mul_f16 v93, 0xbbad, v66 op_sel_hi:[0,1]
	v_alignbit_b32 v69, s0, v26, 16
	v_pk_add_f16 v24, v24, v26
	v_pk_add_f16 v25, v25, v68
	v_mul_f16_sdwa v54, v77, v54 dst_sel:DWORD dst_unused:UNUSED_PAD src0_sel:WORD_1 src1_sel:DWORD
	v_mul_f16_sdwa v55, v77, v52 dst_sel:DWORD dst_unused:UNUSED_PAD src0_sel:WORD_1 src1_sel:DWORD
	v_mul_f16_sdwa v94, v77, v59 dst_sel:DWORD dst_unused:UNUSED_PAD src0_sel:WORD_1 src1_sel:DWORD
	v_mul_f16_sdwa v95, v77, v60 dst_sel:DWORD dst_unused:UNUSED_PAD src0_sel:WORD_1 src1_sel:DWORD
	v_mul_f16_sdwa v96, v76, v51 dst_sel:DWORD dst_unused:UNUSED_PAD src0_sel:WORD_1 src1_sel:DWORD
	v_mul_f16_sdwa v97, v76, v58 dst_sel:DWORD dst_unused:UNUSED_PAD src0_sel:WORD_1 src1_sel:DWORD
	v_mul_f16_sdwa v98, v76, v61 dst_sel:DWORD dst_unused:UNUSED_PAD src0_sel:WORD_1 src1_sel:DWORD
	v_mul_f16_sdwa v99, v76, v57 dst_sel:DWORD dst_unused:UNUSED_PAD src0_sel:WORD_1 src1_sel:DWORD
	v_pk_mul_f16 v100, 0x3abb, v76 op_sel_hi:[0,1]
	v_mul_f16_sdwa v53, v79, v53 dst_sel:DWORD dst_unused:UNUSED_PAD src0_sel:WORD_1 src1_sel:DWORD
	v_mul_f16_sdwa v59, v79, v59 dst_sel:DWORD dst_unused:UNUSED_PAD src0_sel:WORD_1 src1_sel:DWORD
	v_mul_f16_sdwa v101, v79, v62 dst_sel:DWORD dst_unused:UNUSED_PAD src0_sel:WORD_1 src1_sel:DWORD
	v_mul_f16_sdwa v102, v79, v49 dst_sel:DWORD dst_unused:UNUSED_PAD src0_sel:WORD_1 src1_sel:DWORD
	v_mul_f16_sdwa v103, v78, v57 dst_sel:DWORD dst_unused:UNUSED_PAD src0_sel:WORD_1 src1_sel:DWORD
	v_mul_f16_sdwa v104, v78, v61 dst_sel:DWORD dst_unused:UNUSED_PAD src0_sel:WORD_1 src1_sel:DWORD
	v_mul_f16_sdwa v105, v78, v51 dst_sel:DWORD dst_unused:UNUSED_PAD src0_sel:WORD_1 src1_sel:DWORD
	v_mul_f16_sdwa v106, v78, v50 dst_sel:DWORD dst_unused:UNUSED_PAD src0_sel:WORD_1 src1_sel:DWORD
	v_pk_mul_f16 v107, 0xb93d, v78 op_sel_hi:[0,1]
	;; [unrolled: 9-line block ×4, first 2 shown]
	v_fmamk_f16 v115, v66, 0x3abb, v85
	v_fma_f16 v85, v66, 0x3abb, -v85
	v_fmamk_f16 v116, v66, 0x36a6, v86
	v_fma_f16 v86, v66, 0x36a6, -v86
	;; [unrolled: 2-line block ×4, first 2 shown]
	v_fmamk_f16 v88, v65, 0x3853, v89
	v_fmac_f16_e32 v89, 0xb853, v65
	v_fmamk_f16 v119, v65, 0x3b47, v90
	v_fmac_f16_e32 v90, 0xbb47, v65
	;; [unrolled: 2-line block ×4, first 2 shown]
	v_pk_fma_f16 v122, 0xb482, v65, v93 op_sel:[0,0,1] op_sel_hi:[0,1,0]
	v_pk_fma_f16 v65, 0xb482, v65, v93 op_sel:[0,0,1] op_sel_hi:[0,1,0] neg_lo:[0,1,0] neg_hi:[0,1,0]
	v_alignbit_b32 v80, s0, v17, 16
	v_pk_add_f16 v17, v24, v17
	v_pk_add_f16 v24, v25, v69
	v_fmamk_f16 v67, v76, 0x36a6, v54
	v_fma_f16 v54, v76, 0x36a6, -v54
	v_fmamk_f16 v74, v76, 0xb93d, v55
	v_fma_f16 v55, v76, 0xb93d, -v55
	v_fmamk_f16 v93, v76, 0xbbad, v94
	v_fma_f16 v94, v76, 0xbbad, -v94
	v_fmamk_f16 v123, v76, 0xb08e, v95
	v_fma_f16 v76, v76, 0xb08e, -v95
	v_fmamk_f16 v95, v77, 0x3b47, v96
	v_fmac_f16_e32 v96, 0xbb47, v77
	v_fmamk_f16 v124, v77, 0x3a0c, v97
	v_fmac_f16_e32 v97, 0xba0c, v77
	v_fmamk_f16 v125, v77, 0xb482, v98
	v_fmac_f16_e32 v98, 0x3482, v77
	v_fmamk_f16 v126, v77, 0xbbeb, v99
	v_fmac_f16_e32 v99, 0x3beb, v77
	v_pk_fma_f16 v127, 0x3853, v77, v100 op_sel:[0,0,1] op_sel_hi:[0,1,0]
	v_pk_fma_f16 v77, 0x3853, v77, v100 op_sel:[0,0,1] op_sel_hi:[0,1,0] neg_lo:[0,1,0] neg_hi:[0,1,0]
	v_fmamk_f16 v100, v78, 0xb08e, v53
	v_fma_f16 v53, v78, 0xb08e, -v53
	v_fmamk_f16 v128, v78, 0xbbad, v59
	v_fma_f16 v59, v78, 0xbbad, -v59
	v_fmamk_f16 v129, v78, 0x36a6, v101
	v_fma_f16 v101, v78, 0x36a6, -v101
	v_fmamk_f16 v130, v78, 0x3abb, v102
	v_fma_f16 v78, v78, 0x3abb, -v102
	v_fmamk_f16 v102, v79, 0x3beb, v103
	v_fmac_f16_e32 v103, 0xbbeb, v79
	v_fmamk_f16 v131, v79, 0xb482, v104
	v_fmac_f16_e32 v104, 0x3482, v79
	v_fmamk_f16 v132, v79, 0xbb47, v105
	v_fmac_f16_e32 v105, 0x3b47, v79
	v_fmamk_f16 v133, v79, 0x3853, v106
	v_fmac_f16_e32 v106, 0xb853, v79
	v_pk_fma_f16 v134, 0xba0c, v79, v107 op_sel:[0,0,1] op_sel_hi:[0,1,0]
	v_pk_fma_f16 v79, 0xba0c, v79, v107 op_sel:[0,0,1] op_sel_hi:[0,1,0] neg_lo:[0,1,0] neg_hi:[0,1,0]
	;; [unrolled: 18-line block ×4, first 2 shown]
	v_add_f16_e32 v114, v115, v23
	v_add_f16_sdwa v88, v88, v23 dst_sel:DWORD dst_unused:UNUSED_PAD src0_sel:DWORD src1_sel:WORD_1
	v_add_f16_e32 v85, v85, v23
	v_add_f16_sdwa v89, v89, v23 dst_sel:DWORD dst_unused:UNUSED_PAD src0_sel:DWORD src1_sel:WORD_1
	;; [unrolled: 2-line block ×8, first 2 shown]
	v_pk_add_f16 v75, v122, v23 op_sel:[0,1] op_sel_hi:[1,0]
	v_pk_add_f16 v23, v65, v23 op_sel:[0,1] op_sel_hi:[1,0]
	v_alignbit_b32 v81, s0, v18, 16
	v_pk_add_f16 v17, v17, v18
	v_pk_add_f16 v18, v24, v80
	v_add_f16_e32 v26, v67, v114
	v_add_f16_e32 v65, v95, v88
	;; [unrolled: 1-line block ×16, first 2 shown]
	v_pk_add_f16 v75, v127, v75
	v_pk_add_f16 v23, v77, v23
	v_alignbit_b32 v82, s0, v27, 16
	v_pk_add_f16 v18, v18, v81
	v_add_f16_e32 v25, v100, v26
	v_add_f16_e32 v26, v102, v65
	;; [unrolled: 1-line block ×16, first 2 shown]
	v_pk_add_f16 v75, v134, v75
	v_pk_add_f16 v23, v79, v23
	v_alignbit_b32 v83, s0, v28, 16
	v_pk_add_f16 v17, v17, v27
	v_pk_add_f16 v18, v18, v82
	v_add_f16_e32 v24, v107, v25
	v_add_f16_e32 v25, v109, v26
	;; [unrolled: 1-line block ×16, first 2 shown]
	v_pk_add_f16 v70, v141, v75
	v_pk_add_f16 v23, v71, v23
	v_alignbit_b32 v84, s0, v48, 16
	v_pk_add_f16 v17, v17, v28
	v_pk_add_f16 v18, v18, v83
	v_add_f16_e32 v24, v113, v24
	v_add_f16_e32 v25, v72, v25
	;; [unrolled: 1-line block ×13, first 2 shown]
	v_pk_add_f16 v56, v148, v70
	v_pk_add_f16 v23, v73, v23
	v_add_f16_e32 v61, v62, v66
	v_add_f16_e32 v26, v63, v26
	;; [unrolled: 1-line block ×3, first 2 shown]
	v_pk_add_f16 v17, v17, v48
	v_pk_add_f16 v18, v18, v84
	v_pack_b32_f16 v28, v53, v54
	v_pack_b32_f16 v24, v24, v25
	;; [unrolled: 1-line block ×4, first 2 shown]
	v_alignbit_b32 v54, v56, v23, 16
	v_alignbit_b32 v23, v23, v56, 16
	v_pack_b32_f16 v49, v49, v52
	v_pack_b32_f16 v48, v61, v51
	;; [unrolled: 1-line block ×4, first 2 shown]
	v_perm_b32 v17, v17, v18, 0x1000504
	buffer_gl0_inv
	ds_write2_b32 v46, v24, v28 offset0:1 offset1:2
	ds_write2_b32 v46, v53, v25 offset0:3 offset1:4
	;; [unrolled: 1-line block ×5, first 2 shown]
	ds_write_b32 v46, v17
	s_waitcnt lgkmcnt(0)
	s_barrier
	buffer_gl0_inv
	ds_read2_b32 v[25:26], v33 offset1:121
	ds_read2_b32 v[27:28], v45 offset0:114 offset1:235
	ds_read2_b32 v[48:49], v43 offset0:100 offset1:221
	;; [unrolled: 1-line block ×4, first 2 shown]
	ds_read_b32 v46, v33 offset:4840
	s_waitcnt lgkmcnt(0)
	s_barrier
	buffer_gl0_inv
	v_lshrrev_b32_e32 v17, 16, v26
	v_lshrrev_b32_e32 v18, 16, v27
	;; [unrolled: 1-line block ×4, first 2 shown]
	v_mul_f16_sdwa v54, v1, v27 dst_sel:DWORD dst_unused:UNUSED_PAD src0_sel:WORD_1 src1_sel:DWORD
	v_lshrrev_b32_e32 v55, 16, v49
	v_mul_f16_sdwa v56, v2, v28 dst_sel:DWORD dst_unused:UNUSED_PAD src0_sel:WORD_1 src1_sel:DWORD
	v_mul_f16_sdwa v57, v0, v26 dst_sel:DWORD dst_unused:UNUSED_PAD src0_sel:WORD_1 src1_sel:DWORD
	;; [unrolled: 1-line block ×3, first 2 shown]
	v_lshrrev_b32_e32 v59, 16, v50
	v_lshrrev_b32_e32 v60, 16, v51
	;; [unrolled: 1-line block ×3, first 2 shown]
	v_mul_f16_sdwa v62, v4, v49 dst_sel:DWORD dst_unused:UNUSED_PAD src0_sel:WORD_1 src1_sel:DWORD
	v_mul_f16_sdwa v63, v5, v50 dst_sel:DWORD dst_unused:UNUSED_PAD src0_sel:WORD_1 src1_sel:DWORD
	;; [unrolled: 1-line block ×3, first 2 shown]
	v_lshrrev_b32_e32 v65, 16, v46
	v_mul_f16_sdwa v66, v7, v52 dst_sel:DWORD dst_unused:UNUSED_PAD src0_sel:WORD_1 src1_sel:DWORD
	v_mul_f16_sdwa v67, v20, v46 dst_sel:DWORD dst_unused:UNUSED_PAD src0_sel:WORD_1 src1_sel:DWORD
	v_lshrrev_b32_e32 v68, 16, v53
	v_mul_f16_sdwa v70, v1, v18 dst_sel:DWORD dst_unused:UNUSED_PAD src0_sel:WORD_1 src1_sel:DWORD
	v_fma_f16 v54, v1, v18, -v54
	v_mul_f16_sdwa v71, v2, v23 dst_sel:DWORD dst_unused:UNUSED_PAD src0_sel:WORD_1 src1_sel:DWORD
	v_fma_f16 v56, v2, v23, -v56
	v_fma_f16 v57, v0, v17, -v57
	v_mul_f16_sdwa v72, v0, v17 dst_sel:DWORD dst_unused:UNUSED_PAD src0_sel:WORD_1 src1_sel:DWORD
	v_mul_f16_sdwa v73, v3, v24 dst_sel:DWORD dst_unused:UNUSED_PAD src0_sel:WORD_1 src1_sel:DWORD
	v_fma_f16 v58, v3, v24, -v58
	v_mul_f16_sdwa v17, v4, v55 dst_sel:DWORD dst_unused:UNUSED_PAD src0_sel:WORD_1 src1_sel:DWORD
	v_mul_f16_sdwa v18, v5, v59 dst_sel:DWORD dst_unused:UNUSED_PAD src0_sel:WORD_1 src1_sel:DWORD
	;; [unrolled: 1-line block ×3, first 2 shown]
	v_fma_f16 v23, v4, v55, -v62
	v_fma_f16 v24, v5, v59, -v63
	;; [unrolled: 1-line block ×3, first 2 shown]
	v_mul_f16_sdwa v59, v7, v61 dst_sel:DWORD dst_unused:UNUSED_PAD src0_sel:WORD_1 src1_sel:DWORD
	v_fma_f16 v60, v7, v61, -v66
	v_fma_f16 v61, v20, v65, -v67
	v_mul_f16_sdwa v62, v20, v65 dst_sel:DWORD dst_unused:UNUSED_PAD src0_sel:WORD_1 src1_sel:DWORD
	v_mul_f16_sdwa v69, v19, v53 dst_sel:DWORD dst_unused:UNUSED_PAD src0_sel:WORD_1 src1_sel:DWORD
	;; [unrolled: 1-line block ×3, first 2 shown]
	v_fmac_f16_e32 v70, v1, v27
	v_fmac_f16_e32 v72, v0, v26
	;; [unrolled: 1-line block ×3, first 2 shown]
	v_sub_f16_e32 v0, v57, v61
	v_add_f16_e32 v1, v57, v61
	v_fma_f16 v64, v19, v68, -v69
	v_fmac_f16_e32 v71, v2, v28
	v_fmac_f16_e32 v73, v3, v48
	;; [unrolled: 1-line block ×7, first 2 shown]
	v_add_f16_sdwa v2, v57, v25 dst_sel:DWORD dst_unused:UNUSED_PAD src0_sel:DWORD src1_sel:WORD_1
	v_add_f16_e32 v3, v72, v62
	v_mul_f16_e32 v4, 0xb853, v0
	v_mul_f16_e32 v5, 0xbb47, v0
	;; [unrolled: 1-line block ×10, first 2 shown]
	v_sub_f16_e32 v28, v72, v62
	v_add_f16_e32 v46, v72, v25
	v_add_f16_e32 v2, v2, v54
	v_fmamk_f16 v48, v3, 0x3abb, v4
	v_fma_f16 v4, v3, 0x3abb, -v4
	v_fmamk_f16 v49, v3, 0x36a6, v5
	v_fma_f16 v5, v3, 0x36a6, -v5
	;; [unrolled: 2-line block ×5, first 2 shown]
	v_fmamk_f16 v3, v28, 0x3853, v19
	v_fmac_f16_e32 v19, 0xb853, v28
	v_fmamk_f16 v53, v28, 0x3b47, v20
	v_fmac_f16_e32 v20, 0xbb47, v28
	v_fmamk_f16 v57, v28, 0x3beb, v26
	v_fmac_f16_e32 v26, 0xbbeb, v28
	v_fmamk_f16 v65, v28, 0x3a0c, v27
	v_fmac_f16_e32 v27, 0xba0c, v28
	v_fmamk_f16 v66, v28, 0x3482, v1
	v_fmac_f16_e32 v1, 0xb482, v28
	v_add_f16_e32 v28, v46, v70
	v_add_f16_e32 v2, v2, v56
	;; [unrolled: 1-line block ×4, first 2 shown]
	v_add_f16_sdwa v49, v53, v25 dst_sel:DWORD dst_unused:UNUSED_PAD src0_sel:DWORD src1_sel:WORD_1
	v_add_f16_e32 v28, v28, v71
	v_add_f16_e32 v2, v2, v58
	v_add_f16_sdwa v53, v57, v25 dst_sel:DWORD dst_unused:UNUSED_PAD src0_sel:DWORD src1_sel:WORD_1
	v_add_f16_sdwa v57, v65, v25 dst_sel:DWORD dst_unused:UNUSED_PAD src0_sel:DWORD src1_sel:WORD_1
	;; [unrolled: 1-line block ×3, first 2 shown]
	v_add_f16_e32 v28, v28, v73
	v_add_f16_e32 v2, v2, v23
	v_sub_f16_e32 v66, v54, v64
	v_add_f16_e32 v67, v70, v63
	v_add_f16_e32 v54, v54, v64
	;; [unrolled: 1-line block ×4, first 2 shown]
	v_mul_f16_e32 v68, 0xbb47, v66
	v_add_f16_sdwa v3, v3, v25 dst_sel:DWORD dst_unused:UNUSED_PAD src0_sel:DWORD src1_sel:WORD_1
	v_mul_f16_e32 v69, 0x36a6, v54
	v_add_f16_e32 v28, v28, v18
	v_add_f16_e32 v2, v2, v55
	;; [unrolled: 1-line block ×3, first 2 shown]
	v_add_f16_sdwa v19, v19, v25 dst_sel:DWORD dst_unused:UNUSED_PAD src0_sel:DWORD src1_sel:WORD_1
	v_add_f16_e32 v5, v5, v25
	v_add_f16_e32 v28, v28, v74
	;; [unrolled: 1-line block ×3, first 2 shown]
	v_add_f16_sdwa v20, v20, v25 dst_sel:DWORD dst_unused:UNUSED_PAD src0_sel:DWORD src1_sel:WORD_1
	v_add_f16_e32 v50, v50, v25
	v_add_f16_e32 v6, v6, v25
	v_add_f16_e32 v28, v28, v59
	v_add_f16_e32 v2, v2, v64
	v_fmamk_f16 v64, v67, 0x36a6, v68
	v_add_f16_sdwa v26, v26, v25 dst_sel:DWORD dst_unused:UNUSED_PAD src0_sel:DWORD src1_sel:WORD_1
	v_add_f16_e32 v51, v51, v25
	v_add_f16_e32 v28, v28, v63
	v_sub_f16_e32 v63, v70, v63
	v_add_f16_sdwa v2, v2, v61 dst_sel:WORD_1 dst_unused:UNUSED_PAD src0_sel:DWORD src1_sel:DWORD
	v_add_f16_e32 v7, v7, v25
	v_add_f16_sdwa v27, v27, v25 dst_sel:DWORD dst_unused:UNUSED_PAD src0_sel:DWORD src1_sel:WORD_1
	v_add_f16_e32 v28, v28, v62
	v_add_f16_e32 v52, v52, v25
	;; [unrolled: 1-line block ×3, first 2 shown]
	v_add_f16_sdwa v1, v1, v25 dst_sel:DWORD dst_unused:UNUSED_PAD src0_sel:DWORD src1_sel:WORD_1
	v_add_f16_e32 v25, v64, v46
	v_fmamk_f16 v46, v63, 0x3b47, v69
	v_mul_f16_e32 v61, 0xba0c, v66
	v_or_b32_sdwa v2, v2, v28 dst_sel:DWORD dst_unused:UNUSED_PAD src0_sel:DWORD src1_sel:WORD_0
	v_fma_f16 v28, v67, 0x36a6, -v68
	v_mul_f16_e32 v62, 0xb93d, v54
	v_add_f16_e32 v3, v46, v3
	v_fmamk_f16 v46, v67, 0xb93d, v61
	v_fma_f16 v61, v67, 0xb93d, -v61
	v_add_f16_e32 v4, v28, v4
	v_mul_f16_e32 v28, 0x3482, v66
	v_mul_f16_e32 v68, 0xbbad, v54
	v_add_f16_e32 v46, v46, v48
	v_fmamk_f16 v48, v63, 0x3a0c, v62
	v_fmac_f16_e32 v62, 0xba0c, v63
	v_fmamk_f16 v64, v67, 0xbbad, v28
	v_add_f16_e32 v5, v61, v5
	v_fma_f16 v28, v67, 0xbbad, -v28
	v_add_f16_e32 v48, v48, v49
	v_add_f16_e32 v20, v62, v20
	;; [unrolled: 1-line block ×3, first 2 shown]
	v_fmamk_f16 v50, v63, 0xb482, v68
	v_mul_f16_e32 v61, 0x3beb, v66
	v_mul_f16_e32 v62, 0xb08e, v54
	v_add_f16_e32 v6, v28, v6
	v_mul_f16_e32 v64, 0x3853, v66
	v_add_f16_e32 v50, v50, v53
	v_fmamk_f16 v28, v67, 0xb08e, v61
	v_fmamk_f16 v53, v63, 0xbbeb, v62
	v_fma_f16 v61, v67, 0xb08e, -v61
	v_fmac_f16_e32 v62, 0x3beb, v63
	v_fmac_f16_e32 v69, 0xbb47, v63
	v_add_f16_e32 v28, v28, v51
	v_add_f16_e32 v51, v53, v57
	v_mul_f16_e32 v53, 0x3abb, v54
	v_fmamk_f16 v54, v67, 0x3abb, v64
	v_fma_f16 v57, v67, 0x3abb, -v64
	v_sub_f16_e32 v64, v56, v60
	v_add_f16_e32 v56, v56, v60
	v_add_f16_e32 v7, v61, v7
	v_fmamk_f16 v61, v63, 0xb853, v53
	v_fmac_f16_e32 v53, 0x3853, v63
	v_add_f16_e32 v27, v62, v27
	v_add_f16_e32 v60, v71, v59
	v_mul_f16_e32 v62, 0xbbeb, v64
	v_add_f16_e32 v52, v54, v52
	v_sub_f16_e32 v54, v71, v59
	v_mul_f16_e32 v59, 0xb08e, v56
	v_add_f16_e32 v19, v69, v19
	v_fmac_f16_e32 v68, 0x3482, v63
	v_fmamk_f16 v63, v60, 0xb08e, v62
	v_add_f16_e32 v0, v57, v0
	v_add_f16_e32 v1, v53, v1
	v_fmamk_f16 v53, v54, 0x3beb, v59
	v_mul_f16_e32 v57, 0x3482, v64
	v_fmac_f16_e32 v59, 0xbbeb, v54
	v_add_f16_e32 v25, v63, v25
	v_fma_f16 v62, v60, 0xb08e, -v62
	v_add_f16_e32 v3, v53, v3
	v_fmamk_f16 v53, v60, 0xbbad, v57
	v_mul_f16_e32 v63, 0xbbad, v56
	v_add_f16_e32 v19, v59, v19
	v_mul_f16_e32 v59, 0x3b47, v64
	v_add_f16_e32 v61, v61, v65
	v_add_f16_e32 v4, v62, v4
	;; [unrolled: 1-line block ×3, first 2 shown]
	v_fmamk_f16 v53, v54, 0xb482, v63
	v_fma_f16 v57, v60, 0xbbad, -v57
	v_fmamk_f16 v62, v60, 0x36a6, v59
	v_mul_f16_e32 v65, 0x36a6, v56
	v_fmac_f16_e32 v63, 0x3482, v54
	v_add_f16_e32 v48, v53, v48
	v_add_f16_e32 v5, v57, v5
	;; [unrolled: 1-line block ×3, first 2 shown]
	v_fmamk_f16 v53, v54, 0xbb47, v65
	v_fma_f16 v57, v60, 0x36a6, -v59
	v_mul_f16_e32 v59, 0xb853, v64
	v_mul_f16_e32 v62, 0x3abb, v56
	v_add_f16_e32 v20, v63, v20
	v_add_f16_e32 v50, v53, v50
	;; [unrolled: 1-line block ×3, first 2 shown]
	v_fmamk_f16 v53, v60, 0x3abb, v59
	v_fmamk_f16 v57, v54, 0x3853, v62
	v_mul_f16_e32 v63, 0xba0c, v64
	v_fma_f16 v59, v60, 0x3abb, -v59
	v_fmac_f16_e32 v65, 0x3b47, v54
	v_add_f16_e32 v28, v53, v28
	v_add_f16_e32 v51, v57, v51
	v_mul_f16_e32 v53, 0xb93d, v56
	v_fmamk_f16 v56, v60, 0xb93d, v63
	v_fma_f16 v57, v60, 0xb93d, -v63
	v_sub_f16_e32 v60, v58, v55
	v_add_f16_e32 v7, v59, v7
	v_fmac_f16_e32 v62, 0xb853, v54
	v_fmamk_f16 v59, v54, 0x3a0c, v53
	v_fmac_f16_e32 v53, 0xba0c, v54
	v_add_f16_e32 v54, v58, v55
	v_add_f16_e32 v55, v73, v74
	v_mul_f16_e32 v58, 0xba0c, v60
	v_add_f16_e32 v27, v62, v27
	v_add_f16_e32 v1, v53, v1
	v_mul_f16_e32 v53, 0x3beb, v60
	v_add_f16_e32 v52, v56, v52
	v_fmamk_f16 v62, v55, 0xb93d, v58
	v_add_f16_e32 v56, v59, v61
	v_sub_f16_e32 v59, v73, v74
	v_mul_f16_e32 v61, 0xb93d, v54
	v_add_f16_e32 v0, v57, v0
	v_add_f16_e32 v25, v62, v25
	v_fmamk_f16 v62, v55, 0xb08e, v53
	v_fma_f16 v58, v55, 0xb93d, -v58
	v_fmamk_f16 v57, v59, 0x3a0c, v61
	v_fma_f16 v53, v55, 0xb08e, -v53
	v_fmac_f16_e32 v61, 0xba0c, v59
	v_add_f16_e32 v46, v62, v46
	v_mul_f16_e32 v62, 0x3abb, v54
	v_add_f16_e32 v3, v57, v3
	v_mul_f16_e32 v57, 0xb08e, v54
	;; [unrolled: 2-line block ×3, first 2 shown]
	v_add_f16_e32 v5, v53, v5
	v_fmamk_f16 v53, v59, 0x3853, v62
	v_add_f16_e32 v19, v61, v19
	v_fmamk_f16 v61, v59, 0xbbeb, v57
	v_fmac_f16_e32 v57, 0x3beb, v59
	v_fmamk_f16 v63, v55, 0x3abb, v58
	v_fma_f16 v58, v55, 0x3abb, -v58
	v_add_f16_e32 v50, v53, v50
	v_mul_f16_e32 v53, 0xbbad, v54
	v_add_f16_e32 v20, v57, v20
	v_mul_f16_e32 v57, 0xb482, v60
	v_add_f16_e32 v6, v58, v6
	v_mul_f16_e32 v58, 0x3b47, v60
	v_fmamk_f16 v60, v59, 0x3482, v53
	v_fmac_f16_e32 v53, 0xb482, v59
	v_add_f16_e32 v48, v61, v48
	v_fmamk_f16 v61, v55, 0xbbad, v57
	v_fma_f16 v57, v55, 0xbbad, -v57
	v_mul_f16_e32 v54, 0x36a6, v54
	v_add_f16_e32 v27, v53, v27
	v_sub_f16_e32 v53, v23, v24
	v_add_f16_e32 v28, v61, v28
	v_fmamk_f16 v61, v55, 0x36a6, v58
	v_add_f16_e32 v7, v57, v7
	v_fmamk_f16 v57, v59, 0xbb47, v54
	v_add_f16_e32 v23, v23, v24
	v_fma_f16 v24, v55, 0x36a6, -v58
	v_add_f16_e32 v55, v17, v18
	v_mul_f16_e32 v58, 0xb482, v53
	v_fmac_f16_e32 v54, 0x3b47, v59
	v_sub_f16_e32 v17, v17, v18
	v_mul_f16_e32 v18, 0xbbad, v23
	v_add_f16_e32 v56, v57, v56
	v_fmamk_f16 v57, v55, 0xbbad, v58
	v_add_f16_e32 v1, v54, v1
	v_mul_f16_e32 v54, 0x3853, v53
	v_fmac_f16_e32 v62, 0xb853, v59
	v_add_f16_e32 v0, v24, v0
	v_fmamk_f16 v24, v17, 0x3482, v18
	v_add_f16_e32 v25, v57, v25
	v_fma_f16 v57, v55, 0xbbad, -v58
	v_fmac_f16_e32 v18, 0xb482, v17
	v_mul_f16_e32 v58, 0x3abb, v23
	v_fmamk_f16 v59, v55, 0x3abb, v54
	v_add_f16_e32 v3, v24, v3
	v_add_f16_e32 v49, v63, v49
	;; [unrolled: 1-line block ×3, first 2 shown]
	v_fmamk_f16 v19, v17, 0xb853, v58
	v_add_f16_e32 v24, v59, v46
	v_mul_f16_e32 v46, 0xba0c, v53
	v_add_f16_e32 v4, v57, v4
	v_fma_f16 v54, v55, 0x3abb, -v54
	v_mul_f16_e32 v57, 0xb93d, v23
	v_fmac_f16_e32 v58, 0x3853, v17
	v_add_f16_e32 v19, v19, v48
	v_fmamk_f16 v48, v55, 0xb93d, v46
	v_add_f16_e32 v5, v54, v5
	v_fmamk_f16 v54, v17, 0x3a0c, v57
	v_add_f16_e32 v20, v58, v20
	v_mul_f16_e32 v58, 0x3b47, v53
	v_add_f16_e32 v48, v48, v49
	v_fma_f16 v46, v55, 0xb93d, -v46
	v_mul_f16_e32 v49, 0x36a6, v23
	v_add_f16_e32 v26, v68, v26
	v_add_f16_e32 v51, v60, v51
	;; [unrolled: 1-line block ×4, first 2 shown]
	v_fmamk_f16 v46, v17, 0xbb47, v49
	v_fma_f16 v54, v55, 0x36a6, -v58
	v_mul_f16_e32 v53, 0xbbeb, v53
	v_mul_f16_e32 v23, 0xb08e, v23
	v_add_f16_e32 v26, v65, v26
	v_add_f16_e32 v52, v61, v52
	v_fmamk_f16 v59, v55, 0x36a6, v58
	v_add_f16_e32 v46, v46, v51
	v_fmac_f16_e32 v49, 0x3b47, v17
	v_add_f16_e32 v7, v54, v7
	v_fmamk_f16 v51, v55, 0xb08e, v53
	v_fmamk_f16 v54, v17, 0x3beb, v23
	v_fma_f16 v53, v55, 0xb08e, -v53
	v_fmac_f16_e32 v23, 0xbbeb, v17
	v_add_f16_e32 v26, v62, v26
	v_fmac_f16_e32 v57, 0xba0c, v17
	v_pack_b32_f16 v3, v25, v3
	v_add_f16_e32 v28, v59, v28
	v_add_f16_e32 v27, v49, v27
	;; [unrolled: 1-line block ×7, first 2 shown]
	ds_write2_b32 v47, v2, v3 offset1:11
	v_pack_b32_f16 v2, v24, v19
	v_pack_b32_f16 v3, v48, v50
	;; [unrolled: 1-line block ×9, first 2 shown]
	ds_write2_b32 v47, v2, v3 offset0:22 offset1:33
	ds_write2_b32 v47, v19, v17 offset0:44 offset1:55
	;; [unrolled: 1-line block ×4, first 2 shown]
	ds_write_b32 v47, v4 offset:440
	s_waitcnt lgkmcnt(0)
	s_barrier
	buffer_gl0_inv
	ds_read2_b32 v[2:3], v33 offset1:121
	ds_read2_b32 v[0:1], v45 offset0:114 offset1:235
	ds_read2_b32 v[4:5], v43 offset0:100 offset1:221
	;; [unrolled: 1-line block ×4, first 2 shown]
	ds_read_b32 v19, v33 offset:4840
	s_waitcnt lgkmcnt(5)
	v_lshrrev_b32_e32 v20, 16, v3
	s_waitcnt lgkmcnt(4)
	v_lshrrev_b32_e32 v23, 16, v0
	v_lshrrev_b32_e32 v24, 16, v1
	v_mul_f16_sdwa v48, v8, v3 dst_sel:DWORD dst_unused:UNUSED_PAD src0_sel:WORD_1 src1_sel:DWORD
	s_waitcnt lgkmcnt(3)
	v_lshrrev_b32_e32 v25, 16, v4
	v_mul_f16_sdwa v47, v8, v20 dst_sel:DWORD dst_unused:UNUSED_PAD src0_sel:WORD_1 src1_sel:DWORD
	s_waitcnt lgkmcnt(2)
	v_lshrrev_b32_e32 v27, 16, v6
	v_mul_f16_sdwa v49, v9, v23 dst_sel:DWORD dst_unused:UNUSED_PAD src0_sel:WORD_1 src1_sel:DWORD
	v_lshrrev_b32_e32 v26, 16, v5
	s_waitcnt lgkmcnt(0)
	v_lshrrev_b32_e32 v51, 16, v19
	v_fmac_f16_e32 v47, v8, v3
	v_fma_f16 v3, v8, v20, -v48
	v_mul_f16_sdwa v8, v10, v24 dst_sel:DWORD dst_unused:UNUSED_PAD src0_sel:WORD_1 src1_sel:DWORD
	v_mul_f16_sdwa v20, v10, v1 dst_sel:DWORD dst_unused:UNUSED_PAD src0_sel:WORD_1 src1_sel:DWORD
	v_fmac_f16_e32 v49, v9, v0
	v_mul_f16_sdwa v0, v9, v0 dst_sel:DWORD dst_unused:UNUSED_PAD src0_sel:WORD_1 src1_sel:DWORD
	v_mul_f16_sdwa v48, v11, v25 dst_sel:DWORD dst_unused:UNUSED_PAD src0_sel:WORD_1 src1_sel:DWORD
	;; [unrolled: 1-line block ×3, first 2 shown]
	v_fmac_f16_e32 v8, v10, v1
	v_fma_f16 v10, v10, v24, -v20
	v_mul_f16_sdwa v1, v13, v27 dst_sel:DWORD dst_unused:UNUSED_PAD src0_sel:WORD_1 src1_sel:DWORD
	v_mul_f16_sdwa v20, v13, v6 dst_sel:DWORD dst_unused:UNUSED_PAD src0_sel:WORD_1 src1_sel:DWORD
	v_lshrrev_b32_e32 v28, 16, v7
	v_fma_f16 v9, v9, v23, -v0
	v_fmac_f16_e32 v48, v11, v4
	v_fma_f16 v4, v11, v25, -v52
	v_mul_f16_sdwa v0, v12, v26 dst_sel:DWORD dst_unused:UNUSED_PAD src0_sel:WORD_1 src1_sel:DWORD
	v_mul_f16_sdwa v11, v12, v5 dst_sel:DWORD dst_unused:UNUSED_PAD src0_sel:WORD_1 src1_sel:DWORD
	v_fmac_f16_e32 v1, v13, v6
	v_fma_f16 v6, v13, v27, -v20
	v_mul_f16_sdwa v20, v22, v51 dst_sel:DWORD dst_unused:UNUSED_PAD src0_sel:WORD_1 src1_sel:DWORD
	v_lshrrev_b32_e32 v46, 16, v17
	v_mul_f16_sdwa v23, v14, v28 dst_sel:DWORD dst_unused:UNUSED_PAD src0_sel:WORD_1 src1_sel:DWORD
	v_fmac_f16_e32 v0, v12, v5
	v_fma_f16 v5, v12, v26, -v11
	v_mul_f16_sdwa v11, v22, v19 dst_sel:DWORD dst_unused:UNUSED_PAD src0_sel:WORD_1 src1_sel:DWORD
	v_fmac_f16_e32 v20, v22, v19
	v_lshrrev_b32_e32 v50, 16, v18
	v_fmac_f16_e32 v23, v14, v7
	v_mul_f16_sdwa v7, v14, v7 dst_sel:DWORD dst_unused:UNUSED_PAD src0_sel:WORD_1 src1_sel:DWORD
	v_mul_f16_sdwa v12, v15, v46 dst_sel:DWORD dst_unused:UNUSED_PAD src0_sel:WORD_1 src1_sel:DWORD
	;; [unrolled: 1-line block ×3, first 2 shown]
	v_fma_f16 v11, v22, v51, -v11
	v_add_f16_e32 v22, v47, v20
	v_sub_f16_e32 v25, v47, v20
	v_add_f16_e32 v47, v47, v2
	v_fma_f16 v7, v14, v28, -v7
	v_fmac_f16_e32 v12, v15, v17
	v_fma_f16 v13, v15, v46, -v13
	v_sub_f16_e32 v14, v3, v11
	v_mul_f16_sdwa v15, v21, v50 dst_sel:DWORD dst_unused:UNUSED_PAD src0_sel:WORD_1 src1_sel:DWORD
	v_add_f16_e32 v17, v3, v11
	v_mul_f16_sdwa v19, v21, v18 dst_sel:DWORD dst_unused:UNUSED_PAD src0_sel:WORD_1 src1_sel:DWORD
	v_add_f16_sdwa v3, v3, v2 dst_sel:DWORD dst_unused:UNUSED_PAD src0_sel:DWORD src1_sel:WORD_1
	v_add_f16_e32 v47, v47, v49
	v_mul_f16_e32 v24, 0xb853, v14
	v_mul_f16_e32 v26, 0x3abb, v17
	v_fmac_f16_e32 v15, v21, v18
	v_fma_f16 v18, v21, v50, -v19
	v_mul_f16_e32 v21, 0xbb47, v14
	v_mul_f16_e32 v28, 0x36a6, v17
	;; [unrolled: 1-line block ×8, first 2 shown]
	v_add_f16_e32 v3, v3, v9
	v_add_f16_e32 v47, v47, v8
	v_fmamk_f16 v19, v22, 0x3abb, v24
	v_fmamk_f16 v27, v25, 0x3853, v26
	v_fma_f16 v24, v22, 0x3abb, -v24
	v_fmac_f16_e32 v26, 0xb853, v25
	v_fmamk_f16 v46, v22, 0x36a6, v21
	v_fmamk_f16 v51, v25, 0x3b47, v28
	v_fma_f16 v21, v22, 0x36a6, -v21
	v_fmac_f16_e32 v28, 0xbb47, v25
	v_fmamk_f16 v53, v22, 0xb08e, v50
	v_fma_f16 v50, v22, 0xb08e, -v50
	v_fmamk_f16 v55, v22, 0xb93d, v52
	v_fma_f16 v52, v22, 0xb93d, -v52
	;; [unrolled: 2-line block ×3, first 2 shown]
	v_fmamk_f16 v22, v25, 0x3beb, v54
	v_fmac_f16_e32 v54, 0xbbeb, v25
	v_fmamk_f16 v58, v25, 0x3a0c, v56
	v_fmac_f16_e32 v56, 0xba0c, v25
	;; [unrolled: 2-line block ×3, first 2 shown]
	v_add_f16_e32 v3, v3, v10
	v_add_f16_e32 v25, v47, v48
	v_add_f16_sdwa v47, v51, v2 dst_sel:DWORD dst_unused:UNUSED_PAD src0_sel:DWORD src1_sel:WORD_1
	v_add_f16_e32 v51, v53, v2
	v_add_f16_sdwa v53, v54, v2 dst_sel:DWORD dst_unused:UNUSED_PAD src0_sel:DWORD src1_sel:WORD_1
	v_add_f16_e32 v3, v3, v4
	v_add_f16_e32 v25, v25, v0
	;; [unrolled: 1-line block ×3, first 2 shown]
	v_add_f16_sdwa v55, v58, v2 dst_sel:DWORD dst_unused:UNUSED_PAD src0_sel:DWORD src1_sel:WORD_1
	v_add_f16_sdwa v58, v59, v2 dst_sel:DWORD dst_unused:UNUSED_PAD src0_sel:DWORD src1_sel:WORD_1
	v_add_f16_e32 v3, v3, v5
	v_add_f16_e32 v25, v25, v1
	v_sub_f16_e32 v59, v9, v18
	v_add_f16_e32 v9, v9, v18
	v_add_f16_e32 v19, v19, v2
	;; [unrolled: 1-line block ×4, first 2 shown]
	v_add_f16_sdwa v27, v27, v2 dst_sel:DWORD dst_unused:UNUSED_PAD src0_sel:DWORD src1_sel:WORD_1
	v_add_f16_e32 v24, v24, v2
	v_add_f16_sdwa v26, v26, v2 dst_sel:DWORD dst_unused:UNUSED_PAD src0_sel:DWORD src1_sel:WORD_1
	v_add_f16_e32 v3, v3, v7
	v_add_f16_e32 v25, v25, v12
	;; [unrolled: 1-line block ×4, first 2 shown]
	v_add_f16_sdwa v28, v28, v2 dst_sel:DWORD dst_unused:UNUSED_PAD src0_sel:DWORD src1_sel:WORD_1
	v_add_f16_e32 v3, v3, v13
	v_add_f16_e32 v25, v25, v15
	v_add_f16_sdwa v22, v22, v2 dst_sel:DWORD dst_unused:UNUSED_PAD src0_sel:DWORD src1_sel:WORD_1
	v_add_f16_e32 v50, v50, v2
	v_add_f16_e32 v52, v52, v2
	;; [unrolled: 1-line block ×5, first 2 shown]
	v_mul_f16_e32 v25, 0xbb47, v59
	v_add_f16_sdwa v56, v56, v2 dst_sel:DWORD dst_unused:UNUSED_PAD src0_sel:DWORD src1_sel:WORD_1
	v_add_f16_sdwa v3, v3, v11 dst_sel:WORD_1 dst_unused:UNUSED_PAD src0_sel:DWORD src1_sel:DWORD
	v_sub_f16_e32 v11, v49, v15
	v_mul_f16_e32 v15, 0x36a6, v9
	v_fmamk_f16 v49, v18, 0x36a6, v25
	v_add_f16_e32 v57, v57, v2
	v_add_f16_e32 v14, v14, v2
	v_add_f16_sdwa v2, v17, v2 dst_sel:DWORD dst_unused:UNUSED_PAD src0_sel:DWORD src1_sel:WORD_1
	v_or_b32_sdwa v3, v3, v20 dst_sel:DWORD dst_unused:UNUSED_PAD src0_sel:DWORD src1_sel:WORD_0
	v_fmamk_f16 v17, v11, 0x3b47, v15
	v_mul_f16_e32 v20, 0xba0c, v59
	v_add_f16_e32 v19, v49, v19
	v_fma_f16 v25, v18, 0x36a6, -v25
	v_mul_f16_e32 v49, 0xb93d, v9
	v_fmac_f16_e32 v15, 0xbb47, v11
	v_fmamk_f16 v60, v18, 0xb93d, v20
	v_add_f16_e32 v17, v17, v27
	v_add_f16_e32 v24, v25, v24
	v_fmamk_f16 v25, v11, 0x3a0c, v49
	v_fma_f16 v20, v18, 0xb93d, -v20
	v_mul_f16_e32 v27, 0x3482, v59
	v_add_f16_e32 v15, v15, v26
	v_add_f16_e32 v26, v60, v46
	v_fmac_f16_e32 v49, 0xba0c, v11
	v_add_f16_e32 v25, v25, v47
	v_mul_f16_e32 v46, 0xbbad, v9
	v_add_f16_e32 v20, v20, v21
	v_fmamk_f16 v21, v18, 0xbbad, v27
	v_mul_f16_e32 v47, 0x3beb, v59
	v_fma_f16 v27, v18, 0xbbad, -v27
	v_mul_f16_e32 v60, 0xb08e, v9
	v_add_f16_e32 v28, v49, v28
	v_fmamk_f16 v49, v11, 0xb482, v46
	v_add_f16_e32 v21, v21, v51
	v_fmamk_f16 v51, v18, 0xb08e, v47
	;; [unrolled: 2-line block ×3, first 2 shown]
	v_fmac_f16_e32 v46, 0x3482, v11
	v_add_f16_e32 v22, v49, v22
	v_add_f16_e32 v49, v51, v54
	v_mul_f16_e32 v51, 0x3853, v59
	v_mul_f16_e32 v9, 0x3abb, v9
	v_fma_f16 v47, v18, 0xb08e, -v47
	v_fmac_f16_e32 v60, 0x3beb, v11
	v_add_f16_e32 v50, v50, v55
	v_sub_f16_e32 v55, v10, v13
	v_add_f16_e32 v10, v10, v13
	v_add_f16_e32 v46, v46, v53
	v_fmamk_f16 v53, v18, 0x3abb, v51
	v_fmamk_f16 v54, v11, 0xb853, v9
	v_add_f16_e32 v47, v47, v52
	v_add_f16_e32 v52, v60, v56
	;; [unrolled: 1-line block ×3, first 2 shown]
	v_mul_f16_e32 v13, 0xbbeb, v55
	v_fma_f16 v18, v18, 0x3abb, -v51
	v_fmac_f16_e32 v9, 0x3853, v11
	v_sub_f16_e32 v8, v8, v12
	v_mul_f16_e32 v11, 0xb08e, v10
	v_fmamk_f16 v12, v56, 0xb08e, v13
	v_add_f16_e32 v14, v18, v14
	v_add_f16_e32 v2, v9, v2
	v_mul_f16_e32 v9, 0x3482, v55
	v_fmamk_f16 v18, v8, 0x3beb, v11
	v_add_f16_e32 v12, v12, v19
	v_fma_f16 v13, v56, 0xb08e, -v13
	v_fmac_f16_e32 v11, 0xbbeb, v8
	v_fmamk_f16 v19, v56, 0xbbad, v9
	v_add_f16_e32 v17, v18, v17
	v_mul_f16_e32 v18, 0xbbad, v10
	v_add_f16_e32 v13, v13, v24
	v_add_f16_e32 v11, v11, v15
	;; [unrolled: 1-line block ×3, first 2 shown]
	v_mul_f16_e32 v19, 0x3b47, v55
	v_fmamk_f16 v24, v8, 0xb482, v18
	v_fma_f16 v9, v56, 0xbbad, -v9
	v_fmac_f16_e32 v18, 0x3482, v8
	v_mul_f16_e32 v26, 0x36a6, v10
	v_fmamk_f16 v51, v56, 0x36a6, v19
	v_add_f16_e32 v24, v24, v25
	v_mul_f16_e32 v25, 0xb853, v55
	v_fma_f16 v19, v56, 0x36a6, -v19
	v_add_f16_e32 v9, v9, v20
	v_add_f16_e32 v18, v18, v28
	v_fmamk_f16 v20, v8, 0xbb47, v26
	v_fmamk_f16 v28, v56, 0x3abb, v25
	v_add_f16_e32 v19, v19, v27
	v_mul_f16_e32 v27, 0xba0c, v55
	v_add_f16_e32 v53, v53, v57
	v_fmac_f16_e32 v26, 0x3b47, v8
	v_add_f16_e32 v20, v20, v22
	v_mul_f16_e32 v22, 0x3abb, v10
	v_add_f16_e32 v28, v28, v49
	v_fma_f16 v25, v56, 0x3abb, -v25
	v_fmamk_f16 v49, v56, 0xb93d, v27
	v_add_f16_e32 v26, v26, v46
	v_fmamk_f16 v46, v8, 0x3853, v22
	v_mul_f16_e32 v10, 0xb93d, v10
	v_add_f16_e32 v25, v25, v47
	v_add_f16_e32 v47, v49, v53
	v_sub_f16_e32 v49, v4, v7
	v_add_f16_e32 v4, v4, v7
	v_add_f16_e32 v54, v54, v58
	;; [unrolled: 1-line block ×3, first 2 shown]
	v_fmac_f16_e32 v22, 0xb853, v8
	v_add_f16_e32 v46, v46, v50
	v_fmamk_f16 v50, v8, 0x3a0c, v10
	v_fma_f16 v27, v56, 0xb93d, -v27
	v_add_f16_e32 v7, v48, v23
	v_mul_f16_e32 v51, 0xba0c, v49
	v_fmac_f16_e32 v10, 0xba0c, v8
	v_sub_f16_e32 v8, v48, v23
	v_mul_f16_e32 v23, 0xb93d, v4
	v_add_f16_e32 v48, v50, v54
	v_fmamk_f16 v50, v7, 0xb93d, v51
	v_add_f16_e32 v14, v27, v14
	v_add_f16_e32 v2, v10, v2
	v_fmamk_f16 v10, v8, 0x3a0c, v23
	v_mul_f16_e32 v27, 0x3beb, v49
	v_add_f16_e32 v12, v50, v12
	v_fma_f16 v50, v7, 0xb93d, -v51
	v_fmac_f16_e32 v23, 0xba0c, v8
	v_add_f16_e32 v10, v10, v17
	v_fmamk_f16 v17, v7, 0xb08e, v27
	v_mul_f16_e32 v51, 0xb08e, v4
	v_add_f16_e32 v22, v22, v52
	v_add_f16_e32 v11, v23, v11
	v_mul_f16_e32 v23, 0xb853, v49
	v_add_f16_e32 v15, v17, v15
	v_fmamk_f16 v17, v8, 0xbbeb, v51
	v_fma_f16 v27, v7, 0xb08e, -v27
	v_mul_f16_e32 v52, 0x3abb, v4
	v_add_f16_e32 v13, v50, v13
	v_fmamk_f16 v50, v7, 0x3abb, v23
	v_add_f16_e32 v17, v17, v24
	v_add_f16_e32 v9, v27, v9
	v_fmamk_f16 v24, v8, 0x3853, v52
	v_mul_f16_e32 v27, 0xb482, v49
	v_add_f16_e32 v21, v50, v21
	v_fma_f16 v23, v7, 0x3abb, -v23
	v_mul_f16_e32 v50, 0xbbad, v4
	v_add_f16_e32 v20, v24, v20
	v_fmamk_f16 v24, v7, 0xbbad, v27
	v_mul_f16_e32 v49, 0x3b47, v49
	v_fma_f16 v27, v7, 0xbbad, -v27
	v_add_f16_e32 v19, v23, v19
	v_fmamk_f16 v23, v8, 0x3482, v50
	v_add_f16_e32 v24, v24, v28
	v_fmac_f16_e32 v50, 0xb482, v8
	v_fmamk_f16 v28, v7, 0x36a6, v49
	v_add_f16_e32 v25, v27, v25
	v_sub_f16_e32 v27, v5, v6
	v_mul_f16_e32 v4, 0x36a6, v4
	v_add_f16_e32 v22, v50, v22
	v_add_f16_e32 v28, v28, v47
	;; [unrolled: 1-line block ×3, first 2 shown]
	v_mul_f16_e32 v50, 0xb482, v27
	v_add_f16_e32 v5, v5, v6
	v_add_f16_e32 v23, v23, v46
	v_fmamk_f16 v46, v8, 0xbb47, v4
	v_fma_f16 v6, v7, 0x36a6, -v49
	v_fmac_f16_e32 v4, 0x3b47, v8
	v_sub_f16_e32 v0, v0, v1
	v_fmamk_f16 v1, v47, 0xbbad, v50
	v_mul_f16_e32 v7, 0xbbad, v5
	v_fmac_f16_e32 v51, 0x3beb, v8
	v_fmac_f16_e32 v52, 0xb853, v8
	v_add_f16_e32 v8, v46, v48
	v_add_f16_e32 v6, v6, v14
	;; [unrolled: 1-line block ×4, first 2 shown]
	v_fmamk_f16 v4, v0, 0x3482, v7
	v_mul_f16_e32 v12, 0x3853, v27
	v_fma_f16 v14, v47, 0xbbad, -v50
	v_fmac_f16_e32 v7, 0xb482, v0
	v_mul_f16_e32 v46, 0x3abb, v5
	v_add_f16_e32 v18, v51, v18
	v_add_f16_e32 v4, v4, v10
	v_fmamk_f16 v10, v47, 0x3abb, v12
	v_add_f16_e32 v13, v14, v13
	v_add_f16_e32 v7, v7, v11
	v_fmamk_f16 v11, v0, 0xb853, v46
	v_mul_f16_e32 v14, 0xba0c, v27
	v_fma_f16 v12, v47, 0x3abb, -v12
	v_fmac_f16_e32 v46, 0x3853, v0
	v_add_f16_e32 v10, v10, v15
	v_add_f16_e32 v11, v11, v17
	v_fmamk_f16 v15, v47, 0xb93d, v14
	v_mul_f16_e32 v17, 0xb93d, v5
	v_add_f16_e32 v9, v12, v9
	v_add_f16_e32 v12, v46, v18
	v_mul_f16_e32 v18, 0x3b47, v27
	v_add_f16_e32 v15, v15, v21
	v_fmamk_f16 v21, v0, 0x3a0c, v17
	v_fma_f16 v14, v47, 0xb93d, -v14
	v_mul_f16_e32 v48, 0x36a6, v5
	v_fmamk_f16 v46, v47, 0x36a6, v18
	v_fma_f16 v18, v47, 0x36a6, -v18
	v_add_f16_e32 v20, v21, v20
	v_add_f16_e32 v14, v14, v19
	v_fmamk_f16 v21, v0, 0xbb47, v48
	v_add_f16_e32 v19, v46, v24
	v_mul_f16_e32 v24, 0xbbeb, v27
	v_mul_f16_e32 v5, 0xb08e, v5
	v_add_f16_e32 v18, v18, v25
	v_add_f16_e32 v21, v21, v23
	v_fmac_f16_e32 v48, 0x3b47, v0
	v_fmamk_f16 v23, v47, 0xb08e, v24
	v_fmamk_f16 v25, v0, 0x3beb, v5
	v_fma_f16 v24, v47, 0xb08e, -v24
	v_fmac_f16_e32 v5, 0xbbeb, v0
	v_add_f16_e32 v26, v52, v26
	v_fmac_f16_e32 v17, 0xba0c, v0
	v_pack_b32_f16 v0, v1, v4
	v_add_f16_e32 v1, v23, v28
	v_add_f16_e32 v4, v25, v8
	;; [unrolled: 1-line block ×6, first 2 shown]
	ds_write2_b32 v33, v3, v0 offset1:121
	v_pack_b32_f16 v0, v10, v11
	v_pack_b32_f16 v3, v15, v20
	;; [unrolled: 1-line block ×9, first 2 shown]
	ds_write2_b32 v45, v0, v3 offset0:114 offset1:235
	ds_write2_b32 v43, v5, v1 offset0:100 offset1:221
	;; [unrolled: 1-line block ×4, first 2 shown]
	ds_write_b32 v33, v7 offset:4840
	s_waitcnt lgkmcnt(0)
	s_barrier
	buffer_gl0_inv
	ds_read2_b32 v[0:1], v33 offset1:121
	s_waitcnt lgkmcnt(0)
	v_lshrrev_b32_e32 v4, 16, v0
	v_lshrrev_b32_e32 v8, 16, v1
	v_mul_f16_sdwa v17, v42, v1 dst_sel:DWORD dst_unused:UNUSED_PAD src0_sel:WORD_1 src1_sel:DWORD
	v_mul_f16_sdwa v2, v44, v4 dst_sel:DWORD dst_unused:UNUSED_PAD src0_sel:WORD_1 src1_sel:DWORD
	v_fmac_f16_e32 v2, v44, v0
	v_mul_f16_sdwa v0, v44, v0 dst_sel:DWORD dst_unused:UNUSED_PAD src0_sel:WORD_1 src1_sel:DWORD
	v_cvt_f32_f16_e32 v2, v2
	v_fma_f16 v0, v44, v4, -v0
	v_cvt_f64_f32_e32 v[2:3], v2
	v_cvt_f32_f16_e32 v0, v0
	v_cvt_f64_f32_e32 v[4:5], v0
	v_mul_f64 v[2:3], v[2:3], s[2:3]
	v_mul_f64 v[4:5], v[4:5], s[2:3]
	v_and_or_b32 v0, 0x1ff, v3, v2
	v_mul_f16_sdwa v2, v42, v8 dst_sel:DWORD dst_unused:UNUSED_PAD src0_sel:WORD_1 src1_sel:DWORD
	v_lshrrev_b32_e32 v6, 8, v3
	v_bfe_u32 v9, v3, 20, 11
	v_fma_f16 v8, v42, v8, -v17
	v_cmp_ne_u32_e32 vcc_lo, 0, v0
	v_fmac_f16_e32 v2, v42, v1
	v_and_or_b32 v4, 0x1ff, v5, v4
	v_bfe_u32 v12, v5, 20, 11
	v_add_nc_u32_e32 v15, 0xfffffc10, v9
	v_cndmask_b32_e64 v0, 0, 1, vcc_lo
	v_cvt_f32_f16_e32 v2, v2
	v_cmp_ne_u32_e32 vcc_lo, 0, v4
	v_lshrrev_b32_e32 v4, 8, v5
	v_cvt_f32_f16_e32 v8, v8
	v_and_or_b32 v10, 0xffe, v6, v0
	v_sub_nc_u32_e32 v0, 0x3f1, v9
	v_cvt_f64_f32_e32 v[6:7], v2
	v_cndmask_b32_e64 v2, 0, 1, vcc_lo
	v_or_b32_e32 v11, 0x1000, v10
	v_med3_i32 v0, v0, 0, 13
	v_and_or_b32 v2, 0xffe, v4, v2
	v_sub_nc_u32_e32 v4, 0x3f1, v12
	v_add_nc_u32_e32 v12, 0xfffffc10, v12
	v_lshrrev_b32_e32 v13, v0, v11
	v_or_b32_e32 v14, 0x1000, v2
	v_med3_i32 v4, v4, 0, 13
	v_cmp_gt_i32_e64 s1, 1, v12
	v_lshlrev_b32_e32 v0, v0, v13
	v_lshrrev_b32_e32 v9, v4, v14
	v_cmp_ne_u32_e32 vcc_lo, v0, v11
	v_mul_f64 v[6:7], v[6:7], s[2:3]
	v_lshlrev_b32_e32 v4, v4, v9
	v_cndmask_b32_e64 v0, 0, 1, vcc_lo
	v_cmp_gt_i32_e32 vcc_lo, 1, v15
	v_or_b32_e32 v11, v13, v0
	v_lshl_or_b32 v13, v15, 12, v10
	v_mad_u64_u32 v[0:1], null, s10, v16, 0
	v_cndmask_b32_e32 v11, v13, v11, vcc_lo
	v_cmp_ne_u32_e32 vcc_lo, v4, v14
	v_lshl_or_b32 v14, v12, 12, v2
	v_and_b32_e32 v13, 7, v11
	v_cndmask_b32_e64 v4, 0, 1, vcc_lo
	v_lshrrev_b32_e32 v11, 2, v11
	v_and_or_b32 v6, 0x1ff, v7, v6
	v_cmp_lt_i32_e32 vcc_lo, 5, v13
	v_cmp_eq_u32_e64 s0, 3, v13
	v_or_b32_e32 v4, v9, v4
	v_cvt_f64_f32_e32 v[8:9], v8
	v_bfe_u32 v17, v7, 20, 11
	s_or_b32 vcc_lo, s0, vcc_lo
	v_cndmask_b32_e64 v4, v14, v4, s1
	v_add_co_ci_u32_e32 v13, vcc_lo, 0, v11, vcc_lo
	v_cmp_ne_u32_e32 vcc_lo, 0, v10
	v_lshrrev_b32_e32 v10, 8, v7
	v_and_b32_e32 v11, 7, v4
	v_lshrrev_b32_e32 v4, 2, v4
	v_sub_nc_u32_e32 v18, 0x3f1, v17
	v_cndmask_b32_e64 v14, 0, 1, vcc_lo
	v_cmp_ne_u32_e32 vcc_lo, 0, v6
	v_cmp_eq_u32_e64 s0, 3, v11
	v_lshrrev_b32_e32 v7, 16, v7
	v_med3_i32 v18, v18, 0, 13
	v_lshl_or_b32 v14, v14, 9, 0x7c00
	v_cndmask_b32_e64 v6, 0, 1, vcc_lo
	v_cmp_lt_i32_e32 vcc_lo, 5, v11
	v_mul_f64 v[8:9], v[8:9], s[2:3]
	v_and_or_b32 v6, 0xffe, v10, v6
	s_or_b32 vcc_lo, s0, vcc_lo
	ds_read2_b32 v[10:11], v45 offset0:114 offset1:235
	v_add_co_ci_u32_e32 v4, vcc_lo, 0, v4, vcc_lo
	v_cmp_ne_u32_e32 vcc_lo, 0, v2
	v_or_b32_e32 v19, 0x1000, v6
	v_cndmask_b32_e64 v2, 0, 1, vcc_lo
	v_cmp_gt_i32_e32 vcc_lo, 31, v15
	v_lshrrev_b32_e32 v20, v18, v19
	v_lshl_or_b32 v21, v2, 9, 0x7c00
	v_cndmask_b32_e32 v13, 0x7c00, v13, vcc_lo
	v_cmp_gt_i32_e32 vcc_lo, 31, v12
	v_mad_u64_u32 v[1:2], null, s11, v16, v[1:2]
	v_lshlrev_b32_e32 v16, v18, v20
	v_cndmask_b32_e32 v4, 0x7c00, v4, vcc_lo
	v_cmp_eq_u32_e32 vcc_lo, 0x40f, v15
	s_waitcnt lgkmcnt(0)
	v_lshrrev_b32_e32 v18, 16, v10
	v_lshlrev_b64 v[0:1], 2, v[0:1]
	v_cndmask_b32_e32 v13, v13, v14, vcc_lo
	v_cmp_eq_u32_e32 vcc_lo, 0x40f, v12
	v_lshrrev_b32_e32 v12, 8, v9
	v_lshrrev_b32_e32 v14, 16, v3
	v_mad_u64_u32 v[2:3], null, s8, v40, 0
	v_cndmask_b32_e32 v15, v4, v21, vcc_lo
	v_lshrrev_b32_e32 v21, 16, v5
	v_and_or_b32 v4, 0x1ff, v9, v8
	v_mul_f16_sdwa v5, v41, v18 dst_sel:DWORD dst_unused:UNUSED_PAD src0_sel:WORD_1 src1_sel:DWORD
	v_cmp_ne_u32_e32 vcc_lo, v16, v19
	v_add_nc_u32_e32 v16, 0xfffffc10, v17
	v_bfe_u32 v17, v9, 20, 11
	v_and_or_b32 v14, 0x8000, v14, v13
	v_fmac_f16_e32 v5, v41, v10
	v_cndmask_b32_e64 v8, 0, 1, vcc_lo
	v_cmp_ne_u32_e32 vcc_lo, 0, v4
	v_lshl_or_b32 v19, v16, 12, v6
	v_mul_f16_sdwa v10, v41, v10 dst_sel:DWORD dst_unused:UNUSED_PAD src0_sel:WORD_1 src1_sel:DWORD
	v_cvt_f32_f16_e32 v5, v5
	v_or_b32_e32 v8, v20, v8
	v_cndmask_b32_e64 v4, 0, 1, vcc_lo
	v_cmp_gt_i32_e32 vcc_lo, 1, v16
	v_fma_f16 v10, v41, v18, -v10
	v_and_or_b32 v15, 0x8000, v21, v15
	v_and_b32_e32 v14, 0xffff, v14
	v_and_or_b32 v20, 0xffe, v12, v4
	v_cvt_f64_f32_e32 v[4:5], v5
	v_sub_nc_u32_e32 v12, 0x3f1, v17
	v_cndmask_b32_e32 v8, v19, v8, vcc_lo
	v_cvt_f32_f16_e32 v10, v10
	v_or_b32_e32 v19, 0x1000, v20
	v_add_nc_u32_e32 v17, 0xfffffc10, v17
	v_med3_i32 v22, v12, 0, 13
	v_and_b32_e32 v23, 7, v8
	v_lshrrev_b32_e32 v8, 2, v8
	v_lshl_or_b32 v14, v15, 16, v14
	v_lshrrev_b32_e32 v9, 16, v9
	v_lshrrev_b32_e32 v24, v22, v19
	v_cmp_lt_i32_e32 vcc_lo, 5, v23
	v_cmp_eq_u32_e64 s0, 3, v23
	s_or_b32 vcc_lo, s0, vcc_lo
	v_add_co_ci_u32_e32 v8, vcc_lo, 0, v8, vcc_lo
	v_mad_u64_u32 v[12:13], null, s9, v40, v[3:4]
	v_lshlrev_b32_e32 v13, v22, v24
	v_mul_f64 v[4:5], v[4:5], s[2:3]
	v_cmp_ne_u32_e32 vcc_lo, v13, v19
	v_mov_b32_e32 v3, v12
	v_cvt_f64_f32_e32 v[12:13], v10
	v_cndmask_b32_e64 v18, 0, 1, vcc_lo
	v_cmp_ne_u32_e32 vcc_lo, 0, v6
	v_or_b32_e32 v10, v24, v18
	v_cndmask_b32_e64 v6, 0, 1, vcc_lo
	v_cmp_gt_i32_e32 vcc_lo, 31, v16
	v_lshl_or_b32 v18, v17, 12, v20
	v_lshl_or_b32 v6, v6, 9, 0x7c00
	v_cndmask_b32_e32 v8, 0x7c00, v8, vcc_lo
	v_cmp_gt_i32_e32 vcc_lo, 1, v17
	v_and_or_b32 v4, 0x1ff, v5, v4
	v_cndmask_b32_e32 v10, v18, v10, vcc_lo
	v_add_co_u32 v15, vcc_lo, s4, v0
	v_add_co_ci_u32_e32 v18, vcc_lo, s5, v1, vcc_lo
	v_lshlrev_b64 v[0:1], 2, v[2:3]
	v_mul_f64 v[2:3], v[12:13], s[2:3]
	v_and_b32_e32 v19, 7, v10
	v_cmp_eq_u32_e32 vcc_lo, 0x40f, v16
	v_cmp_ne_u32_e64 s1, 0, v4
	v_lshrrev_b32_e32 v10, 2, v10
	v_lshrrev_b32_e32 v12, 8, v5
	v_cmp_eq_u32_e64 s0, 3, v19
	v_cndmask_b32_e32 v6, v8, v6, vcc_lo
	v_cmp_lt_i32_e32 vcc_lo, 5, v19
	v_lshrrev_b32_e32 v8, 16, v11
	v_cndmask_b32_e64 v4, 0, 1, s1
	v_bfe_u32 v13, v5, 20, 11
	v_add_co_u32 v0, s1, v15, v0
	s_or_b32 vcc_lo, s0, vcc_lo
	v_mul_f16_sdwa v15, v38, v8 dst_sel:DWORD dst_unused:UNUSED_PAD src0_sel:WORD_1 src1_sel:DWORD
	v_add_co_ci_u32_e32 v10, vcc_lo, 0, v10, vcc_lo
	v_and_or_b32 v4, 0xffe, v12, v4
	v_sub_nc_u32_e32 v12, 0x3f1, v13
	v_cmp_ne_u32_e32 vcc_lo, 0, v20
	v_fmac_f16_e32 v15, v38, v11
	v_add_co_ci_u32_e64 v1, s1, v18, v1, s1
	v_or_b32_e32 v18, 0x1000, v4
	v_med3_i32 v12, v12, 0, 13
	v_and_or_b32 v2, 0x1ff, v3, v2
	v_cndmask_b32_e64 v19, 0, 1, vcc_lo
	v_cmp_gt_i32_e32 vcc_lo, 31, v17
	v_and_or_b32 v16, 0x8000, v7, v6
	v_cvt_f32_f16_e32 v6, v15
	v_lshrrev_b32_e32 v15, v12, v18
	v_lshl_or_b32 v19, v19, 9, 0x7c00
	v_cndmask_b32_e32 v10, 0x7c00, v10, vcc_lo
	v_cmp_ne_u32_e32 vcc_lo, 0, v2
	v_cvt_f64_f32_e32 v[6:7], v6
	v_lshlrev_b32_e32 v12, v12, v15
	v_lshrrev_b32_e32 v20, 8, v3
	v_bfe_u32 v21, v3, 20, 11
	v_cndmask_b32_e64 v2, 0, 1, vcc_lo
	v_cmp_eq_u32_e32 vcc_lo, 0x40f, v17
	v_add_nc_u32_e32 v13, 0xfffffc10, v13
	v_mul_f16_sdwa v11, v38, v11 dst_sel:DWORD dst_unused:UNUSED_PAD src0_sel:WORD_1 src1_sel:DWORD
	v_sub_nc_u32_e32 v17, 0x3f1, v21
	v_and_or_b32 v2, 0xffe, v20, v2
	v_cndmask_b32_e32 v10, v10, v19, vcc_lo
	v_cmp_ne_u32_e32 vcc_lo, v12, v18
	global_store_dword v[0:1], v14, off
	v_med3_i32 v17, v17, 0, 13
	v_fma_f16 v8, v38, v8, -v11
	v_and_or_b32 v9, 0x8000, v9, v10
	v_cndmask_b32_e64 v12, 0, 1, vcc_lo
	v_or_b32_e32 v10, 0x1000, v2
	v_cmp_gt_i32_e32 vcc_lo, 1, v13
	v_and_b32_e32 v11, 0xffff, v16
	v_cvt_f32_f16_e32 v8, v8
	v_or_b32_e32 v12, v15, v12
	v_lshl_or_b32 v15, v13, 12, v4
	v_lshrrev_b32_e32 v18, v17, v10
	v_mul_f64 v[6:7], v[6:7], s[2:3]
	v_lshl_or_b32 v16, v9, 16, v11
	v_cvt_f64_f32_e32 v[8:9], v8
	v_cndmask_b32_e32 v12, v15, v12, vcc_lo
	v_lshlrev_b32_e32 v14, v17, v18
	s_mul_i32 s1, s9, 0x1e4
	s_mul_hi_u32 s4, s8, 0x1e4
	s_mul_i32 s5, s8, 0x1e4
	v_and_b32_e32 v15, 7, v12
	v_cmp_ne_u32_e64 s0, v14, v10
	v_lshrrev_b32_e32 v12, 2, v12
	v_add_nc_u32_e32 v14, 0xfffffc10, v21
	s_add_i32 s4, s4, s1
	v_cmp_lt_i32_e32 vcc_lo, 5, v15
	v_cndmask_b32_e64 v10, 0, 1, s0
	v_cmp_eq_u32_e64 s0, 3, v15
	v_lshl_or_b32 v17, v14, 12, v2
	v_or_b32_e32 v15, v18, v10
	s_or_b32 vcc_lo, s0, vcc_lo
	ds_read2_b32 v[10:11], v43 offset0:100 offset1:221
	v_add_co_ci_u32_e32 v12, vcc_lo, 0, v12, vcc_lo
	v_cmp_ne_u32_e32 vcc_lo, 0, v4
	v_and_or_b32 v6, 0x1ff, v7, v6
	v_mul_f64 v[8:9], v[8:9], s[2:3]
	v_bfe_u32 v18, v7, 20, 11
	v_cndmask_b32_e64 v4, 0, 1, vcc_lo
	v_cmp_gt_i32_e32 vcc_lo, 1, v14
	v_lshl_or_b32 v4, v4, 9, 0x7c00
	v_cndmask_b32_e32 v15, v17, v15, vcc_lo
	v_cmp_ne_u32_e32 vcc_lo, 0, v6
	v_lshrrev_b32_e32 v17, 8, v7
	v_lshrrev_b32_e32 v7, 16, v7
	v_and_b32_e32 v19, 7, v15
	v_cndmask_b32_e64 v6, 0, 1, vcc_lo
	v_cmp_gt_i32_e32 vcc_lo, 31, v13
	s_waitcnt lgkmcnt(0)
	v_lshrrev_b32_e32 v20, 16, v10
	v_cmp_eq_u32_e64 s0, 3, v19
	v_and_or_b32 v6, 0xffe, v17, v6
	v_cndmask_b32_e32 v12, 0x7c00, v12, vcc_lo
	v_cmp_eq_u32_e32 vcc_lo, 0x40f, v13
	v_sub_nc_u32_e32 v17, 0x3f1, v18
	v_and_or_b32 v8, 0x1ff, v9, v8
	v_or_b32_e32 v13, 0x1000, v6
	v_bfe_u32 v23, v9, 20, 11
	v_cndmask_b32_e32 v12, v12, v4, vcc_lo
	v_cmp_lt_i32_e32 vcc_lo, 5, v19
	v_lshrrev_b32_e32 v19, 16, v5
	v_lshrrev_b32_e32 v5, 2, v15
	v_med3_i32 v4, v17, 0, 13
	v_mul_f16_sdwa v17, v37, v20 dst_sel:DWORD dst_unused:UNUSED_PAD src0_sel:WORD_1 src1_sel:DWORD
	s_or_b32 vcc_lo, s0, vcc_lo
	v_add_nc_u32_e32 v18, 0xfffffc10, v18
	v_add_co_ci_u32_e32 v5, vcc_lo, 0, v5, vcc_lo
	v_cmp_ne_u32_e32 vcc_lo, 0, v2
	v_fmac_f16_e32 v17, v37, v10
	v_lshrrev_b32_e32 v15, v4, v13
	v_and_or_b32 v12, 0x8000, v19, v12
	v_lshrrev_b32_e32 v19, 16, v3
	v_cndmask_b32_e64 v2, 0, 1, vcc_lo
	v_cmp_gt_i32_e32 vcc_lo, 31, v14
	v_cvt_f32_f16_e32 v17, v17
	v_lshlrev_b32_e32 v21, v4, v15
	v_mul_f16_sdwa v10, v37, v10 dst_sel:DWORD dst_unused:UNUSED_PAD src0_sel:WORD_1 src1_sel:DWORD
	v_lshl_or_b32 v2, v2, 9, 0x7c00
	v_cndmask_b32_e32 v22, 0x7c00, v5, vcc_lo
	v_cmp_ne_u32_e32 vcc_lo, 0, v8
	v_cvt_f64_f32_e32 v[4:5], v17
	v_lshrrev_b32_e32 v17, 8, v9
	v_fma_f16 v10, v37, v20, -v10
	v_and_b32_e32 v12, 0xffff, v12
	v_cndmask_b32_e64 v8, 0, 1, vcc_lo
	v_cmp_ne_u32_e32 vcc_lo, v21, v13
	v_lshrrev_b32_e32 v9, 16, v9
	v_cvt_f32_f16_e32 v10, v10
	v_and_or_b32 v8, 0xffe, v17, v8
	v_sub_nc_u32_e32 v17, 0x3f1, v23
	v_cndmask_b32_e64 v13, 0, 1, vcc_lo
	v_cmp_eq_u32_e32 vcc_lo, 0x40f, v14
	v_or_b32_e32 v21, 0x1000, v8
	v_med3_i32 v17, v17, 0, 13
	v_or_b32_e32 v13, v15, v13
	v_lshl_or_b32 v15, v18, 12, v6
	v_cndmask_b32_e32 v14, v22, v2, vcc_lo
	v_cmp_gt_i32_e32 vcc_lo, 1, v18
	v_lshrrev_b32_e32 v22, v17, v21
	v_mul_f64 v[2:3], v[4:5], s[2:3]
	v_and_or_b32 v14, 0x8000, v19, v14
	v_cndmask_b32_e32 v13, v15, v13, vcc_lo
	v_lshlrev_b32_e32 v4, v17, v22
	v_add_co_u32 v0, vcc_lo, v0, s5
	v_add_co_ci_u32_e32 v1, vcc_lo, s4, v1, vcc_lo
	v_and_b32_e32 v5, 7, v13
	v_cmp_ne_u32_e64 s0, v4, v21
	v_lshrrev_b32_e32 v13, 2, v13
	global_store_dword v[0:1], v16, off
	v_add_nc_u32_e32 v16, 0xfffffc10, v23
	v_cmp_lt_i32_e32 vcc_lo, 5, v5
	v_cndmask_b32_e64 v15, 0, 1, s0
	v_cmp_eq_u32_e64 s0, 3, v5
	v_cvt_f64_f32_e32 v[4:5], v10
	v_lshl_or_b32 v14, v14, 16, v12
	v_or_b32_e32 v10, v22, v15
	s_or_b32 vcc_lo, s0, vcc_lo
	v_lshl_or_b32 v15, v16, 12, v8
	v_add_co_ci_u32_e32 v13, vcc_lo, 0, v13, vcc_lo
	v_cmp_ne_u32_e32 vcc_lo, 0, v6
	v_and_or_b32 v2, 0x1ff, v3, v2
	v_cndmask_b32_e64 v6, 0, 1, vcc_lo
	v_cmp_gt_i32_e32 vcc_lo, 1, v16
	v_lshl_or_b32 v6, v6, 9, 0x7c00
	v_cndmask_b32_e32 v10, v15, v10, vcc_lo
	v_cmp_gt_i32_e32 vcc_lo, 31, v18
	v_bfe_u32 v15, v3, 20, 11
	v_mul_f64 v[4:5], v[4:5], s[2:3]
	v_and_b32_e32 v17, 7, v10
	v_cndmask_b32_e32 v12, 0x7c00, v13, vcc_lo
	v_cmp_ne_u32_e32 vcc_lo, 0, v2
	v_lshrrev_b32_e32 v10, 2, v10
	v_lshrrev_b32_e32 v13, 8, v3
	v_cmp_eq_u32_e64 s0, 3, v17
	v_cndmask_b32_e64 v2, 0, 1, vcc_lo
	v_cmp_eq_u32_e32 vcc_lo, 0x40f, v18
	v_and_or_b32 v2, 0xffe, v13, v2
	v_cndmask_b32_e32 v6, v12, v6, vcc_lo
	v_cmp_lt_i32_e32 vcc_lo, 5, v17
	v_sub_nc_u32_e32 v12, 0x3f1, v15
	v_lshrrev_b32_e32 v17, 16, v11
	v_or_b32_e32 v13, 0x1000, v2
	v_and_or_b32 v20, 0x8000, v7, v6
	s_or_b32 vcc_lo, s0, vcc_lo
	v_med3_i32 v12, v12, 0, 13
	v_add_co_ci_u32_e32 v10, vcc_lo, 0, v10, vcc_lo
	v_cmp_ne_u32_e32 vcc_lo, 0, v8
	v_mul_f16_sdwa v18, v35, v17 dst_sel:DWORD dst_unused:UNUSED_PAD src0_sel:WORD_1 src1_sel:DWORD
	v_lshrrev_b32_e32 v19, v12, v13
	v_and_or_b32 v4, 0x1ff, v5, v4
	v_add_nc_u32_e32 v15, 0xfffffc10, v15
	v_cndmask_b32_e64 v8, 0, 1, vcc_lo
	v_cmp_gt_i32_e32 vcc_lo, 31, v16
	v_fmac_f16_e32 v18, v35, v11
	v_lshlrev_b32_e32 v12, v12, v19
	v_mul_f16_sdwa v11, v35, v11 dst_sel:DWORD dst_unused:UNUSED_PAD src0_sel:WORD_1 src1_sel:DWORD
	v_lshl_or_b32 v8, v8, 9, 0x7c00
	v_cndmask_b32_e32 v10, 0x7c00, v10, vcc_lo
	v_cmp_eq_u32_e32 vcc_lo, 0x40f, v16
	v_cvt_f32_f16_e32 v18, v18
	v_bfe_u32 v16, v5, 20, 11
	v_fma_f16 v11, v35, v17, -v11
	v_cndmask_b32_e32 v8, v10, v8, vcc_lo
	v_cmp_ne_u32_e32 vcc_lo, 0, v4
	v_lshrrev_b32_e32 v10, 8, v5
	v_cvt_f64_f32_e32 v[6:7], v18
	v_cvt_f32_f16_e32 v11, v11
	v_and_or_b32 v8, 0x8000, v9, v8
	v_cndmask_b32_e64 v4, 0, 1, vcc_lo
	v_cmp_ne_u32_e32 vcc_lo, v12, v13
	v_lshl_or_b32 v13, v15, 12, v2
	v_and_b32_e32 v9, 0xffff, v20
	v_lshrrev_b32_e32 v5, 16, v5
	v_and_or_b32 v4, 0xffe, v10, v4
	v_cndmask_b32_e64 v12, 0, 1, vcc_lo
	v_sub_nc_u32_e32 v10, 0x3f1, v16
	v_cmp_gt_i32_e32 vcc_lo, 1, v15
	v_add_nc_u32_e32 v16, 0xfffffc10, v16
	v_or_b32_e32 v18, 0x1000, v4
	v_or_b32_e32 v12, v19, v12
	v_med3_i32 v10, v10, 0, 13
	v_lshl_or_b32 v19, v8, 16, v9
	v_cvt_f64_f32_e32 v[8:9], v11
	v_lshl_or_b32 v20, v16, 12, v4
	v_cndmask_b32_e32 v12, v13, v12, vcc_lo
	v_lshrrev_b32_e32 v13, v10, v18
	v_add_co_u32 v0, vcc_lo, v0, s5
	v_mul_f64 v[6:7], v[6:7], s[2:3]
	v_and_b32_e32 v17, 7, v12
	v_lshlrev_b32_e32 v10, v10, v13
	v_add_co_ci_u32_e32 v1, vcc_lo, s4, v1, vcc_lo
	v_lshrrev_b32_e32 v11, 2, v12
	v_cmp_lt_i32_e32 vcc_lo, 5, v17
	v_cmp_eq_u32_e64 s0, 3, v17
	v_cmp_ne_u32_e64 s1, v10, v18
	global_store_dword v[0:1], v14, off
	s_or_b32 vcc_lo, s0, vcc_lo
	v_cndmask_b32_e64 v10, 0, 1, s1
	v_add_co_ci_u32_e32 v17, vcc_lo, 0, v11, vcc_lo
	v_cmp_ne_u32_e32 vcc_lo, 0, v2
	v_mul_f64 v[8:9], v[8:9], s[2:3]
	v_or_b32_e32 v18, v13, v10
	ds_read2_b32 v[10:11], v39 offset0:86 offset1:207
	v_cndmask_b32_e64 v2, 0, 1, vcc_lo
	v_add_co_u32 v12, vcc_lo, v0, s5
	v_add_co_ci_u32_e32 v13, vcc_lo, s4, v1, vcc_lo
	v_cmp_gt_i32_e32 vcc_lo, 1, v16
	v_and_or_b32 v6, 0x1ff, v7, v6
	v_lshl_or_b32 v2, v2, 9, 0x7c00
	v_lshrrev_b32_e32 v21, 8, v7
	v_bfe_u32 v22, v7, 20, 11
	v_cndmask_b32_e32 v18, v20, v18, vcc_lo
	v_cmp_gt_i32_e32 vcc_lo, 31, v15
	v_lshrrev_b32_e32 v7, 16, v7
	v_and_b32_e32 v20, 7, v18
	v_cndmask_b32_e32 v17, 0x7c00, v17, vcc_lo
	v_cmp_ne_u32_e32 vcc_lo, 0, v6
	s_waitcnt lgkmcnt(0)
	v_lshrrev_b32_e32 v23, 16, v10
	v_lshrrev_b32_e32 v18, 2, v18
	v_cmp_eq_u32_e64 s0, 3, v20
	v_and_or_b32 v8, 0x1ff, v9, v8
	v_cndmask_b32_e64 v6, 0, 1, vcc_lo
	v_cmp_eq_u32_e32 vcc_lo, 0x40f, v15
	v_lshrrev_b32_e32 v25, 8, v9
	v_bfe_u32 v26, v9, 20, 11
	v_lshrrev_b32_e32 v9, 16, v9
	v_and_or_b32 v6, 0xffe, v21, v6
	v_cndmask_b32_e32 v15, v17, v2, vcc_lo
	v_cmp_lt_i32_e32 vcc_lo, 5, v20
	v_mul_f16_sdwa v2, v34, v23 dst_sel:DWORD dst_unused:UNUSED_PAD src0_sel:WORD_1 src1_sel:DWORD
	v_lshrrev_b32_e32 v17, 16, v3
	v_sub_nc_u32_e32 v3, 0x3f1, v22
	v_or_b32_e32 v20, 0x1000, v6
	s_or_b32 vcc_lo, s0, vcc_lo
	v_fmac_f16_e32 v2, v34, v10
	v_add_co_ci_u32_e32 v18, vcc_lo, 0, v18, vcc_lo
	v_cmp_ne_u32_e32 vcc_lo, 0, v4
	v_med3_i32 v21, v3, 0, 13
	v_cvt_f32_f16_e32 v2, v2
	v_and_or_b32 v15, 0x8000, v17, v15
	v_mul_f16_sdwa v10, v34, v10 dst_sel:DWORD dst_unused:UNUSED_PAD src0_sel:WORD_1 src1_sel:DWORD
	v_cndmask_b32_e64 v4, 0, 1, vcc_lo
	v_cmp_ne_u32_e32 vcc_lo, 0, v8
	v_cvt_f64_f32_e32 v[2:3], v2
	v_lshrrev_b32_e32 v24, v21, v20
	v_fma_f16 v0, v34, v23, -v10
	v_lshl_or_b32 v4, v4, 9, 0x7c00
	v_cndmask_b32_e64 v8, 0, 1, vcc_lo
	v_cmp_gt_i32_e32 vcc_lo, 31, v16
	v_lshlrev_b32_e32 v21, v21, v24
	v_and_or_b32 v8, 0xffe, v25, v8
	v_cndmask_b32_e32 v18, 0x7c00, v18, vcc_lo
	v_cmp_eq_u32_e32 vcc_lo, 0x40f, v16
	v_sub_nc_u32_e32 v25, 0x3f1, v26
	v_cndmask_b32_e32 v4, v18, v4, vcc_lo
	v_cmp_ne_u32_e32 vcc_lo, v21, v20
	v_add_nc_u32_e32 v18, 0xfffffc10, v22
	v_or_b32_e32 v20, 0x1000, v8
	v_med3_i32 v21, v25, 0, 13
	v_and_or_b32 v4, 0x8000, v5, v4
	v_cndmask_b32_e64 v16, 0, 1, vcc_lo
	v_mul_f64 v[2:3], v[2:3], s[2:3]
	v_lshl_or_b32 v17, v18, 12, v6
	v_lshrrev_b32_e32 v22, v21, v20
	v_cmp_gt_i32_e32 vcc_lo, 1, v18
	v_or_b32_e32 v16, v24, v16
	v_and_b32_e32 v5, 0xffff, v15
	v_cndmask_b32_e32 v15, v17, v16, vcc_lo
	v_lshlrev_b32_e32 v16, v21, v22
	v_lshl_or_b32 v17, v4, 16, v5
	v_cvt_f32_f16_e32 v4, v0
	v_and_b32_e32 v10, 7, v15
	v_cmp_ne_u32_e32 vcc_lo, v16, v20
	v_add_nc_u32_e32 v16, 0xfffffc10, v26
	v_cvt_f64_f32_e32 v[4:5], v4
	v_cmp_eq_u32_e64 s0, 3, v10
	v_cndmask_b32_e64 v14, 0, 1, vcc_lo
	v_add_co_u32 v0, vcc_lo, v12, s5
	v_add_co_ci_u32_e32 v1, vcc_lo, s4, v13, vcc_lo
	v_cmp_lt_i32_e32 vcc_lo, 5, v10
	v_lshrrev_b32_e32 v10, 2, v15
	v_and_or_b32 v2, 0x1ff, v3, v2
	v_or_b32_e32 v14, v22, v14
	v_lshl_or_b32 v20, v16, 12, v8
	s_or_b32 vcc_lo, s0, vcc_lo
	v_cmp_gt_i32_e64 s1, 1, v16
	v_add_co_ci_u32_e32 v10, vcc_lo, 0, v10, vcc_lo
	v_cmp_ne_u32_e32 vcc_lo, 0, v2
	v_lshrrev_b32_e32 v15, 8, v3
	v_cndmask_b32_e64 v14, v20, v14, s1
	v_bfe_u32 v20, v3, 20, 11
	v_lshrrev_b32_e32 v22, 16, v11
	v_cndmask_b32_e64 v2, 0, 1, vcc_lo
	v_cmp_ne_u32_e32 vcc_lo, 0, v6
	v_and_b32_e32 v21, 7, v14
	v_lshrrev_b32_e32 v14, 2, v14
	v_mul_f64 v[4:5], v[4:5], s[2:3]
	v_and_or_b32 v2, 0xffe, v15, v2
	v_cndmask_b32_e64 v6, 0, 1, vcc_lo
	v_cmp_gt_i32_e32 vcc_lo, 31, v18
	v_cmp_eq_u32_e64 s0, 3, v21
	v_sub_nc_u32_e32 v15, 0x3f1, v20
	v_mul_f16_sdwa v24, v32, v22 dst_sel:DWORD dst_unused:UNUSED_PAD src0_sel:WORD_1 src1_sel:DWORD
	v_or_b32_e32 v23, 0x1000, v2
	v_cndmask_b32_e32 v10, 0x7c00, v10, vcc_lo
	v_cmp_lt_i32_e32 vcc_lo, 5, v21
	v_med3_i32 v15, v15, 0, 13
	v_fmac_f16_e32 v24, v32, v11
	v_lshl_or_b32 v6, v6, 9, 0x7c00
	global_store_dword v[12:13], v19, off
	global_store_dword v[0:1], v17, off
	s_or_b32 vcc_lo, s0, vcc_lo
	v_lshrrev_b32_e32 v21, v15, v23
	v_add_co_ci_u32_e32 v14, vcc_lo, 0, v14, vcc_lo
	v_cmp_ne_u32_e32 vcc_lo, 0, v8
	v_cvt_f32_f16_e32 v24, v24
	v_lshlrev_b32_e32 v25, v15, v21
	v_mul_f16_sdwa v11, v32, v11 dst_sel:DWORD dst_unused:UNUSED_PAD src0_sel:WORD_1 src1_sel:DWORD
	v_and_or_b32 v4, 0x1ff, v5, v4
	v_cndmask_b32_e64 v8, 0, 1, vcc_lo
	v_cmp_gt_i32_e32 vcc_lo, 31, v16
	v_lshrrev_b32_e32 v3, 16, v3
	v_fma_f16 v11, v32, v22, -v11
	v_lshl_or_b32 v8, v8, 9, 0x7c00
	v_cndmask_b32_e32 v26, 0x7c00, v14, vcc_lo
	v_cmp_eq_u32_e32 vcc_lo, 0x40f, v18
	v_cvt_f64_f32_e32 v[14:15], v24
	v_bfe_u32 v18, v5, 20, 11
	v_cvt_f32_f16_e32 v11, v11
	v_cndmask_b32_e32 v6, v10, v6, vcc_lo
	v_cmp_eq_u32_e32 vcc_lo, 0x40f, v16
	v_add_nc_u32_e32 v16, 0xfffffc10, v20
	v_and_or_b32 v6, 0x8000, v7, v6
	v_cndmask_b32_e32 v8, v26, v8, vcc_lo
	v_cmp_ne_u32_e32 vcc_lo, v25, v23
	v_lshrrev_b32_e32 v7, 8, v5
	v_lshl_or_b32 v20, v16, 12, v2
	v_lshrrev_b32_e32 v5, 16, v5
	v_and_or_b32 v8, 0x8000, v9, v8
	v_cndmask_b32_e64 v10, 0, 1, vcc_lo
	v_cmp_ne_u32_e32 vcc_lo, 0, v4
	v_sub_nc_u32_e32 v9, 0x3f1, v18
	v_or_b32_e32 v10, v21, v10
	v_cndmask_b32_e64 v4, 0, 1, vcc_lo
	v_and_b32_e32 v21, 0xffff, v6
	v_cmp_gt_i32_e32 vcc_lo, 1, v16
	v_and_or_b32 v4, 0xffe, v7, v4
	v_mul_f64 v[6:7], v[14:15], s[2:3]
	v_med3_i32 v15, v9, 0, 13
	v_lshl_or_b32 v12, v8, 16, v21
	ds_read2_b32 v[8:9], v36 offset0:72 offset1:193
	v_or_b32_e32 v14, 0x1000, v4
	v_cndmask_b32_e32 v10, v20, v10, vcc_lo
	v_add_co_u32 v0, vcc_lo, v0, s5
	v_add_co_ci_u32_e32 v1, vcc_lo, s4, v1, vcc_lo
	v_lshrrev_b32_e32 v17, v15, v14
	v_and_b32_e32 v13, 7, v10
	global_store_dword v[0:1], v12, off
	v_lshrrev_b32_e32 v12, 2, v10
	v_lshlrev_b32_e32 v15, v15, v17
	v_cmp_lt_i32_e32 vcc_lo, 5, v13
	v_cmp_eq_u32_e64 s0, 3, v13
	v_cvt_f64_f32_e32 v[10:11], v11
	v_cmp_ne_u32_e64 s1, v15, v14
	v_add_nc_u32_e32 v14, 0xfffffc10, v18
	v_and_or_b32 v6, 0x1ff, v7, v6
	s_waitcnt lgkmcnt(0)
	v_lshrrev_b32_e32 v15, 16, v8
	s_or_b32 vcc_lo, s0, vcc_lo
	v_cndmask_b32_e64 v13, 0, 1, s1
	v_lshrrev_b32_e32 v18, 8, v7
	v_cmp_ne_u32_e64 s1, 0, v6
	v_mul_f16_sdwa v20, v31, v15 dst_sel:DWORD dst_unused:UNUSED_PAD src0_sel:WORD_1 src1_sel:DWORD
	v_bfe_u32 v19, v7, 20, 11
	v_or_b32_e32 v13, v17, v13
	v_lshl_or_b32 v17, v14, 12, v4
	v_cndmask_b32_e64 v6, 0, 1, s1
	v_cmp_gt_i32_e64 s1, 1, v14
	v_add_co_ci_u32_e32 v21, vcc_lo, 0, v12, vcc_lo
	v_cmp_ne_u32_e32 vcc_lo, 0, v2
	v_fmac_f16_e32 v20, v31, v8
	v_cndmask_b32_e64 v17, v17, v13, s1
	v_and_or_b32 v6, 0xffe, v18, v6
	v_sub_nc_u32_e32 v18, 0x3f1, v19
	v_cndmask_b32_e64 v2, 0, 1, vcc_lo
	v_cvt_f32_f16_e32 v13, v20
	v_and_b32_e32 v12, 7, v17
	v_lshrrev_b32_e32 v17, 2, v17
	v_or_b32_e32 v22, 0x1000, v6
	v_med3_i32 v18, v18, 0, 13
	v_cmp_gt_i32_e64 s1, 31, v16
	v_cmp_lt_i32_e32 vcc_lo, 5, v12
	v_cmp_eq_u32_e64 s0, 3, v12
	v_mul_f64 v[10:11], v[10:11], s[2:3]
	v_cvt_f64_f32_e32 v[12:13], v13
	v_lshrrev_b32_e32 v20, v18, v22
	v_cndmask_b32_e64 v21, 0x7c00, v21, s1
	s_or_b32 vcc_lo, s0, vcc_lo
	v_lshl_or_b32 v2, v2, 9, 0x7c00
	v_add_co_ci_u32_e32 v17, vcc_lo, 0, v17, vcc_lo
	v_cmp_eq_u32_e32 vcc_lo, 0x40f, v16
	v_lshlrev_b32_e32 v18, v18, v20
	v_mul_f16_sdwa v8, v31, v8 dst_sel:DWORD dst_unused:UNUSED_PAD src0_sel:WORD_1 src1_sel:DWORD
	v_lshrrev_b32_e32 v23, 16, v9
	v_lshrrev_b32_e32 v7, 16, v7
	v_cndmask_b32_e32 v2, v21, v2, vcc_lo
	v_cmp_ne_u32_e32 vcc_lo, 0, v4
	v_and_or_b32 v2, 0x8000, v3, v2
	v_cndmask_b32_e64 v4, 0, 1, vcc_lo
	v_cmp_ne_u32_e32 vcc_lo, v18, v22
	v_add_nc_u32_e32 v18, 0xfffffc10, v19
	v_and_or_b32 v10, 0x1ff, v11, v10
	v_mul_f64 v[12:13], v[12:13], s[2:3]
	v_lshl_or_b32 v4, v4, 9, 0x7c00
	v_cndmask_b32_e64 v16, 0, 1, vcc_lo
	v_cmp_gt_i32_e32 vcc_lo, 31, v14
	v_lshl_or_b32 v19, v18, 12, v6
	v_fma_f16 v3, v31, v15, -v8
	v_and_b32_e32 v15, 0xffff, v2
	v_or_b32_e32 v16, v20, v16
	v_cndmask_b32_e32 v17, 0x7c00, v17, vcc_lo
	v_cmp_gt_i32_e32 vcc_lo, 1, v18
	v_cvt_f32_f16_e32 v3, v3
	v_cndmask_b32_e32 v16, v19, v16, vcc_lo
	v_cmp_ne_u32_e32 vcc_lo, 0, v10
	v_lshrrev_b32_e32 v19, 8, v11
	v_cvt_f64_f32_e32 v[2:3], v3
	v_cndmask_b32_e64 v10, 0, 1, vcc_lo
	v_cmp_eq_u32_e32 vcc_lo, 0x40f, v14
	v_bfe_u32 v14, v11, 20, 11
	v_and_or_b32 v12, 0x1ff, v13, v12
	v_bfe_u32 v20, v13, 20, 11
	v_and_or_b32 v10, 0xffe, v19, v10
	v_cndmask_b32_e32 v4, v17, v4, vcc_lo
	v_and_b32_e32 v17, 7, v16
	v_sub_nc_u32_e32 v19, 0x3f1, v14
	v_lshrrev_b32_e32 v16, 2, v16
	v_and_or_b32 v5, 0x8000, v5, v4
	v_cmp_lt_i32_e32 vcc_lo, 5, v17
	v_cmp_eq_u32_e64 s0, 3, v17
	v_or_b32_e32 v4, 0x1000, v10
	v_med3_i32 v8, v19, 0, 13
	v_lshrrev_b32_e32 v19, 8, v13
	s_or_b32 vcc_lo, s0, vcc_lo
	v_add_co_ci_u32_e32 v16, vcc_lo, 0, v16, vcc_lo
	v_lshrrev_b32_e32 v17, v8, v4
	v_cmp_ne_u32_e32 vcc_lo, 0, v12
	v_lshlrev_b32_e32 v8, v8, v17
	v_cndmask_b32_e64 v12, 0, 1, vcc_lo
	v_cmp_gt_i32_e32 vcc_lo, 31, v18
	v_and_or_b32 v12, 0xffe, v19, v12
	v_cndmask_b32_e32 v16, 0x7c00, v16, vcc_lo
	v_sub_nc_u32_e32 v19, 0x3f1, v20
	v_cmp_ne_u32_e32 vcc_lo, v8, v4
	v_add_nc_u32_e32 v8, 0xfffffc10, v14
	v_or_b32_e32 v14, 0x1000, v12
	v_med3_i32 v19, v19, 0, 13
	v_cndmask_b32_e64 v4, 0, 1, vcc_lo
	v_cmp_ne_u32_e32 vcc_lo, 0, v6
	v_lshl_or_b32 v21, v8, 12, v10
	v_lshrrev_b32_e32 v22, v19, v14
	v_or_b32_e32 v17, v17, v4
	v_cndmask_b32_e64 v6, 0, 1, vcc_lo
	v_cmp_gt_i32_e32 vcc_lo, 1, v8
	v_mul_f64 v[3:4], v[2:3], s[2:3]
	v_lshl_or_b32 v2, v5, 16, v15
	v_lshlrev_b32_e32 v5, v19, v22
	v_mul_f16_sdwa v15, v30, v23 dst_sel:DWORD dst_unused:UNUSED_PAD src0_sel:WORD_1 src1_sel:DWORD
	v_cndmask_b32_e32 v17, v21, v17, vcc_lo
	v_lshl_or_b32 v6, v6, 9, 0x7c00
	v_cmp_eq_u32_e32 vcc_lo, 0x40f, v18
	v_cmp_ne_u32_e64 s0, v5, v14
	v_fmac_f16_e32 v15, v30, v9
	v_and_b32_e32 v19, 7, v17
	v_add_nc_u32_e32 v14, 0xfffffc10, v20
	v_cndmask_b32_e32 v16, v16, v6, vcc_lo
	v_cndmask_b32_e64 v5, 0, 1, s0
	v_cvt_f32_f16_e32 v6, v15
	v_cmp_lt_i32_e32 vcc_lo, 5, v19
	v_cmp_eq_u32_e64 s0, 3, v19
	v_lshrrev_b32_e32 v15, 2, v17
	v_or_b32_e32 v17, v22, v5
	v_cvt_f64_f32_e32 v[5:6], v6
	v_lshl_or_b32 v18, v14, 12, v12
	s_or_b32 vcc_lo, s0, vcc_lo
	v_and_or_b32 v7, 0x8000, v7, v16
	v_add_co_ci_u32_e32 v15, vcc_lo, 0, v15, vcc_lo
	v_cmp_ne_u32_e32 vcc_lo, 0, v10
	v_and_or_b32 v3, 0x1ff, v4, v3
	v_bfe_u32 v19, v4, 20, 11
	v_mul_f16_sdwa v9, v30, v9 dst_sel:DWORD dst_unused:UNUSED_PAD src0_sel:WORD_1 src1_sel:DWORD
	v_and_b32_e32 v7, 0xffff, v7
	v_cndmask_b32_e64 v10, 0, 1, vcc_lo
	v_cmp_gt_i32_e32 vcc_lo, 1, v14
	v_fma_f16 v9, v30, v23, -v9
	v_lshl_or_b32 v10, v10, 9, 0x7c00
	v_cndmask_b32_e32 v17, v18, v17, vcc_lo
	v_cmp_ne_u32_e32 vcc_lo, 0, v3
	v_lshrrev_b32_e32 v18, 8, v4
	v_and_b32_e32 v20, 7, v17
	v_cndmask_b32_e64 v3, 0, 1, vcc_lo
	v_cmp_gt_i32_e32 vcc_lo, 31, v8
	v_mul_f64 v[5:6], v[5:6], s[2:3]
	v_lshrrev_b32_e32 v16, 2, v17
	v_cmp_eq_u32_e64 s0, 3, v20
	v_and_or_b32 v3, 0xffe, v18, v3
	v_cndmask_b32_e32 v15, 0x7c00, v15, vcc_lo
	v_add_co_u32 v0, vcc_lo, v0, s5
	v_add_co_ci_u32_e32 v1, vcc_lo, s4, v1, vcc_lo
	v_sub_nc_u32_e32 v18, 0x3f1, v19
	v_cmp_eq_u32_e32 vcc_lo, 0x40f, v8
	ds_read_b32 v17, v33 offset:4840
	v_cndmask_b32_e32 v8, v15, v10, vcc_lo
	v_lshrrev_b32_e32 v10, 16, v11
	v_or_b32_e32 v11, 0x1000, v3
	v_med3_i32 v15, v18, 0, 13
	v_cmp_lt_i32_e32 vcc_lo, 5, v20
	v_and_or_b32 v8, 0x8000, v10, v8
	v_and_or_b32 v5, 0x1ff, v6, v5
	v_lshrrev_b32_e32 v10, v15, v11
	s_or_b32 vcc_lo, s0, vcc_lo
	v_bfe_u32 v20, v6, 20, 11
	v_add_co_ci_u32_e32 v16, vcc_lo, 0, v16, vcc_lo
	v_lshlrev_b32_e32 v15, v15, v10
	v_cmp_ne_u32_e32 vcc_lo, 0, v12
	v_lshl_or_b32 v18, v8, 16, v7
	v_cvt_f32_f16_e32 v7, v9
	v_cndmask_b32_e64 v12, 0, 1, vcc_lo
	v_cmp_ne_u32_e32 vcc_lo, v15, v11
	v_add_nc_u32_e32 v15, 0xfffffc10, v19
	v_lshrrev_b32_e32 v19, 8, v6
	v_cvt_f64_f32_e32 v[7:8], v7
	v_lshrrev_b32_e32 v6, 16, v6
	v_cndmask_b32_e64 v9, 0, 1, vcc_lo
	v_cmp_gt_i32_e32 vcc_lo, 31, v14
	v_or_b32_e32 v9, v10, v9
	v_cndmask_b32_e32 v11, 0x7c00, v16, vcc_lo
	v_cmp_ne_u32_e32 vcc_lo, 0, v5
	s_waitcnt lgkmcnt(0)
	v_lshrrev_b32_e32 v16, 16, v17
	v_lshl_or_b32 v10, v15, 12, v3
	v_cndmask_b32_e64 v5, 0, 1, vcc_lo
	v_cmp_gt_i32_e32 vcc_lo, 1, v15
	v_mul_f16_sdwa v21, v29, v16 dst_sel:DWORD dst_unused:UNUSED_PAD src0_sel:WORD_1 src1_sel:DWORD
	v_and_or_b32 v5, 0xffe, v19, v5
	v_sub_nc_u32_e32 v19, 0x3f1, v20
	v_cndmask_b32_e32 v22, v10, v9, vcc_lo
	v_fmac_f16_e32 v21, v29, v17
	v_lshl_or_b32 v9, v12, 9, 0x7c00
	v_or_b32_e32 v12, 0x1000, v5
	v_med3_i32 v19, v19, 0, 13
	v_cmp_eq_u32_e32 vcc_lo, 0x40f, v14
	v_and_b32_e32 v23, 7, v22
	v_cvt_f32_f16_e32 v10, v21
	v_mul_f16_sdwa v14, v29, v17 dst_sel:DWORD dst_unused:UNUSED_PAD src0_sel:WORD_1 src1_sel:DWORD
	v_lshrrev_b32_e32 v17, 16, v13
	v_cndmask_b32_e32 v21, v11, v9, vcc_lo
	v_lshrrev_b32_e32 v11, v19, v12
	v_cmp_lt_i32_e32 vcc_lo, 5, v23
	v_cmp_eq_u32_e64 s0, 3, v23
	v_lshrrev_b32_e32 v13, 2, v22
	v_cvt_f64_f32_e32 v[9:10], v10
	v_lshlrev_b32_e32 v19, v19, v11
	v_mul_f64 v[7:8], v[7:8], s[2:3]
	s_or_b32 vcc_lo, s0, vcc_lo
	v_fma_f16 v14, v29, v16, -v14
	v_add_co_ci_u32_e32 v13, vcc_lo, 0, v13, vcc_lo
	v_cmp_ne_u32_e32 vcc_lo, v19, v12
	v_add_nc_u32_e32 v16, 0xfffffc10, v20
	v_cvt_f32_f16_e32 v14, v14
	v_and_or_b32 v17, 0x8000, v17, v21
	v_cndmask_b32_e64 v12, 0, 1, vcc_lo
	v_cmp_ne_u32_e32 vcc_lo, 0, v3
	v_lshl_or_b32 v20, v16, 12, v5
	v_and_b32_e32 v17, 0xffff, v17
	v_or_b32_e32 v19, v11, v12
	v_cndmask_b32_e64 v3, 0, 1, vcc_lo
	v_cmp_gt_i32_e32 vcc_lo, 31, v15
	v_cvt_f64_f32_e32 v[11:12], v14
	v_mul_f64 v[9:10], v[9:10], s[2:3]
	v_lshl_or_b32 v3, v3, 9, 0x7c00
	v_cndmask_b32_e32 v22, 0x7c00, v13, vcc_lo
	v_add_co_u32 v13, vcc_lo, v0, s5
	v_add_co_ci_u32_e32 v14, vcc_lo, s4, v1, vcc_lo
	v_cmp_gt_i32_e32 vcc_lo, 1, v16
	v_and_or_b32 v7, 0x1ff, v8, v7
	v_cndmask_b32_e32 v19, v20, v19, vcc_lo
	v_cmp_eq_u32_e32 vcc_lo, 0x40f, v15
	v_bfe_u32 v20, v8, 20, 11
	v_and_b32_e32 v23, 7, v19
	v_cndmask_b32_e32 v15, v22, v3, vcc_lo
	v_cmp_ne_u32_e32 vcc_lo, 0, v7
	v_lshrrev_b32_e32 v7, 8, v8
	v_lshrrev_b32_e32 v22, 16, v4
	v_sub_nc_u32_e32 v21, 0x3f1, v20
	v_cmp_eq_u32_e64 s0, 3, v23
	v_cndmask_b32_e64 v3, 0, 1, vcc_lo
	v_cmp_lt_i32_e32 vcc_lo, 5, v23
	v_lshrrev_b32_e32 v19, 2, v19
	v_and_or_b32 v9, 0x1ff, v10, v9
	v_bfe_u32 v23, v10, 20, 11
	v_and_or_b32 v7, 0xffe, v7, v3
	v_mul_f64 v[3:4], v[11:12], s[2:3]
	v_and_or_b32 v11, 0x8000, v22, v15
	v_med3_i32 v15, v21, 0, 13
	s_or_b32 vcc_lo, s0, vcc_lo
	v_or_b32_e32 v12, 0x1000, v7
	v_add_co_ci_u32_e32 v19, vcc_lo, 0, v19, vcc_lo
	v_cmp_ne_u32_e32 vcc_lo, 0, v9
	v_lshrrev_b32_e32 v22, 8, v10
	v_lshrrev_b32_e32 v21, v15, v12
	;; [unrolled: 1-line block ×4, first 2 shown]
	v_cndmask_b32_e64 v9, 0, 1, vcc_lo
	v_cmp_ne_u32_e32 vcc_lo, 0, v5
	v_lshlrev_b32_e32 v15, v15, v21
	v_lshl_or_b32 v11, v11, 16, v17
	v_and_or_b32 v9, 0xffe, v22, v9
	v_cndmask_b32_e64 v5, 0, 1, vcc_lo
	v_cmp_ne_u32_e32 vcc_lo, v15, v12
	v_sub_nc_u32_e32 v22, 0x3f1, v23
	v_add_nc_u32_e32 v15, 0xfffffc10, v20
	v_and_or_b32 v3, 0x1ff, v4, v3
	v_or_b32_e32 v20, 0x1000, v9
	v_cndmask_b32_e64 v12, 0, 1, vcc_lo
	v_cmp_gt_i32_e32 vcc_lo, 31, v16
	v_med3_i32 v22, v22, 0, 13
	v_lshrrev_b32_e32 v24, 8, v4
	v_bfe_u32 v25, v4, 20, 11
	v_or_b32_e32 v12, v21, v12
	v_cndmask_b32_e32 v19, 0x7c00, v19, vcc_lo
	v_cmp_ne_u32_e32 vcc_lo, 0, v3
	v_lshl_or_b32 v21, v15, 12, v7
	v_lshrrev_b32_e32 v26, v22, v20
	v_lshl_or_b32 v5, v5, 9, 0x7c00
	v_cndmask_b32_e64 v3, 0, 1, vcc_lo
	v_cmp_gt_i32_e32 vcc_lo, 1, v15
	v_and_or_b32 v3, 0xffe, v24, v3
	v_sub_nc_u32_e32 v24, 0x3f1, v25
	v_cndmask_b32_e32 v12, v21, v12, vcc_lo
	v_lshlrev_b32_e32 v21, v22, v26
	v_cmp_eq_u32_e32 vcc_lo, 0x40f, v16
	v_or_b32_e32 v22, 0x1000, v3
	v_med3_i32 v24, v24, 0, 13
	v_and_b32_e32 v27, 7, v12
	v_lshrrev_b32_e32 v12, 2, v12
	v_cndmask_b32_e32 v5, v19, v5, vcc_lo
	v_cmp_ne_u32_e32 vcc_lo, v21, v20
	v_add_nc_u32_e32 v19, 0xfffffc10, v23
	v_lshrrev_b32_e32 v20, v24, v22
	v_cmp_eq_u32_e64 s0, 3, v27
	v_and_or_b32 v5, 0x8000, v6, v5
	v_cndmask_b32_e64 v16, 0, 1, vcc_lo
	v_lshl_or_b32 v21, v19, 12, v9
	v_lshlrev_b32_e32 v23, v24, v20
	v_cmp_gt_i32_e64 s1, 1, v19
	v_cmp_lt_i32_e32 vcc_lo, 5, v27
	v_or_b32_e32 v16, v26, v16
	v_and_b32_e32 v5, 0xffff, v5
	s_or_b32 vcc_lo, s0, vcc_lo
	v_cndmask_b32_e64 v16, v21, v16, s1
	v_cmp_ne_u32_e64 s1, v23, v22
	v_add_nc_u32_e32 v22, 0xfffffc10, v25
	v_add_co_ci_u32_e32 v12, vcc_lo, 0, v12, vcc_lo
	v_and_b32_e32 v23, 7, v16
	v_cndmask_b32_e64 v21, 0, 1, s1
	v_cmp_ne_u32_e32 vcc_lo, 0, v7
	v_cmp_gt_i32_e64 s0, 1, v22
	v_lshrrev_b32_e32 v16, 2, v16
	v_cmp_gt_i32_e64 s1, 31, v15
	v_or_b32_e32 v20, v20, v21
	v_lshl_or_b32 v21, v22, 12, v3
	v_cndmask_b32_e64 v7, 0, 1, vcc_lo
	v_cmp_lt_i32_e32 vcc_lo, 5, v23
	v_cndmask_b32_e64 v12, 0x7c00, v12, s1
	v_cmp_eq_u32_e64 s1, 0x40f, v15
	v_cndmask_b32_e64 v6, v21, v20, s0
	v_cmp_eq_u32_e64 s0, 3, v23
	v_lshl_or_b32 v7, v7, 9, 0x7c00
	v_and_b32_e32 v20, 7, v6
	s_or_b32 vcc_lo, s0, vcc_lo
	v_lshrrev_b32_e32 v6, 2, v6
	v_add_co_ci_u32_e32 v16, vcc_lo, 0, v16, vcc_lo
	v_cmp_ne_u32_e32 vcc_lo, 0, v9
	v_cmp_eq_u32_e64 s0, 3, v20
	v_cndmask_b32_e64 v7, v12, v7, s1
	v_cmp_gt_i32_e64 s1, 31, v19
	v_cndmask_b32_e64 v9, 0, 1, vcc_lo
	v_cmp_lt_i32_e32 vcc_lo, 5, v20
	v_and_or_b32 v7, 0x8000, v8, v7
	v_cndmask_b32_e64 v12, 0x7c00, v16, s1
	v_lshl_or_b32 v9, v9, 9, 0x7c00
	s_or_b32 vcc_lo, s0, vcc_lo
	v_add_co_ci_u32_e32 v6, vcc_lo, 0, v6, vcc_lo
	v_cmp_ne_u32_e32 vcc_lo, 0, v3
	v_cndmask_b32_e64 v3, 0, 1, vcc_lo
	v_cmp_eq_u32_e32 vcc_lo, 0x40f, v19
	v_lshl_or_b32 v3, v3, 9, 0x7c00
	v_cndmask_b32_e32 v9, v12, v9, vcc_lo
	v_cmp_gt_i32_e32 vcc_lo, 31, v22
	v_and_or_b32 v8, 0x8000, v10, v9
	v_cndmask_b32_e32 v6, 0x7c00, v6, vcc_lo
	v_cmp_eq_u32_e32 vcc_lo, 0x40f, v22
	v_lshrrev_b32_e32 v9, 16, v4
	v_lshl_or_b32 v10, v7, 16, v5
	v_and_b32_e32 v8, 0xffff, v8
	v_cndmask_b32_e32 v6, v6, v3, vcc_lo
	v_add_co_u32 v3, vcc_lo, v13, s5
	v_add_co_ci_u32_e32 v4, vcc_lo, s4, v14, vcc_lo
	v_and_or_b32 v7, 0x8000, v9, v6
	v_add_co_u32 v5, vcc_lo, v3, s5
	v_add_co_ci_u32_e32 v6, vcc_lo, s4, v4, vcc_lo
	v_lshl_or_b32 v9, v7, 16, v8
	v_add_co_u32 v7, vcc_lo, v5, s5
	v_add_co_ci_u32_e32 v8, vcc_lo, s4, v6, vcc_lo
	global_store_dword v[0:1], v2, off
	global_store_dword v[13:14], v18, off
	;; [unrolled: 1-line block ×5, first 2 shown]
.LBB0_2:
	s_endpgm
	.section	.rodata,"a",@progbits
	.p2align	6, 0x0
	.amdhsa_kernel bluestein_single_back_len1331_dim1_half_op_CI_CI
		.amdhsa_group_segment_fixed_size 10648
		.amdhsa_private_segment_fixed_size 0
		.amdhsa_kernarg_size 104
		.amdhsa_user_sgpr_count 6
		.amdhsa_user_sgpr_private_segment_buffer 1
		.amdhsa_user_sgpr_dispatch_ptr 0
		.amdhsa_user_sgpr_queue_ptr 0
		.amdhsa_user_sgpr_kernarg_segment_ptr 1
		.amdhsa_user_sgpr_dispatch_id 0
		.amdhsa_user_sgpr_flat_scratch_init 0
		.amdhsa_user_sgpr_private_segment_size 0
		.amdhsa_wavefront_size32 1
		.amdhsa_uses_dynamic_stack 0
		.amdhsa_system_sgpr_private_segment_wavefront_offset 0
		.amdhsa_system_sgpr_workgroup_id_x 1
		.amdhsa_system_sgpr_workgroup_id_y 0
		.amdhsa_system_sgpr_workgroup_id_z 0
		.amdhsa_system_sgpr_workgroup_info 0
		.amdhsa_system_vgpr_workitem_id 0
		.amdhsa_next_free_vgpr 160
		.amdhsa_next_free_sgpr 20
		.amdhsa_reserve_vcc 1
		.amdhsa_reserve_flat_scratch 0
		.amdhsa_float_round_mode_32 0
		.amdhsa_float_round_mode_16_64 0
		.amdhsa_float_denorm_mode_32 3
		.amdhsa_float_denorm_mode_16_64 3
		.amdhsa_dx10_clamp 1
		.amdhsa_ieee_mode 1
		.amdhsa_fp16_overflow 0
		.amdhsa_workgroup_processor_mode 1
		.amdhsa_memory_ordered 1
		.amdhsa_forward_progress 0
		.amdhsa_shared_vgpr_count 0
		.amdhsa_exception_fp_ieee_invalid_op 0
		.amdhsa_exception_fp_denorm_src 0
		.amdhsa_exception_fp_ieee_div_zero 0
		.amdhsa_exception_fp_ieee_overflow 0
		.amdhsa_exception_fp_ieee_underflow 0
		.amdhsa_exception_fp_ieee_inexact 0
		.amdhsa_exception_int_div_zero 0
	.end_amdhsa_kernel
	.text
.Lfunc_end0:
	.size	bluestein_single_back_len1331_dim1_half_op_CI_CI, .Lfunc_end0-bluestein_single_back_len1331_dim1_half_op_CI_CI
                                        ; -- End function
	.section	.AMDGPU.csdata,"",@progbits
; Kernel info:
; codeLenInByte = 22936
; NumSgprs: 22
; NumVgprs: 160
; ScratchSize: 0
; MemoryBound: 0
; FloatMode: 240
; IeeeMode: 1
; LDSByteSize: 10648 bytes/workgroup (compile time only)
; SGPRBlocks: 2
; VGPRBlocks: 19
; NumSGPRsForWavesPerEU: 22
; NumVGPRsForWavesPerEU: 160
; Occupancy: 6
; WaveLimiterHint : 1
; COMPUTE_PGM_RSRC2:SCRATCH_EN: 0
; COMPUTE_PGM_RSRC2:USER_SGPR: 6
; COMPUTE_PGM_RSRC2:TRAP_HANDLER: 0
; COMPUTE_PGM_RSRC2:TGID_X_EN: 1
; COMPUTE_PGM_RSRC2:TGID_Y_EN: 0
; COMPUTE_PGM_RSRC2:TGID_Z_EN: 0
; COMPUTE_PGM_RSRC2:TIDIG_COMP_CNT: 0
	.text
	.p2alignl 6, 3214868480
	.fill 48, 4, 3214868480
	.type	__hip_cuid_2d1faa0da41a7754,@object ; @__hip_cuid_2d1faa0da41a7754
	.section	.bss,"aw",@nobits
	.globl	__hip_cuid_2d1faa0da41a7754
__hip_cuid_2d1faa0da41a7754:
	.byte	0                               ; 0x0
	.size	__hip_cuid_2d1faa0da41a7754, 1

	.ident	"AMD clang version 19.0.0git (https://github.com/RadeonOpenCompute/llvm-project roc-6.4.0 25133 c7fe45cf4b819c5991fe208aaa96edf142730f1d)"
	.section	".note.GNU-stack","",@progbits
	.addrsig
	.addrsig_sym __hip_cuid_2d1faa0da41a7754
	.amdgpu_metadata
---
amdhsa.kernels:
  - .args:
      - .actual_access:  read_only
        .address_space:  global
        .offset:         0
        .size:           8
        .value_kind:     global_buffer
      - .actual_access:  read_only
        .address_space:  global
        .offset:         8
        .size:           8
        .value_kind:     global_buffer
      - .actual_access:  read_only
        .address_space:  global
        .offset:         16
        .size:           8
        .value_kind:     global_buffer
      - .actual_access:  read_only
        .address_space:  global
        .offset:         24
        .size:           8
        .value_kind:     global_buffer
      - .actual_access:  read_only
        .address_space:  global
        .offset:         32
        .size:           8
        .value_kind:     global_buffer
      - .offset:         40
        .size:           8
        .value_kind:     by_value
      - .address_space:  global
        .offset:         48
        .size:           8
        .value_kind:     global_buffer
      - .address_space:  global
        .offset:         56
        .size:           8
        .value_kind:     global_buffer
      - .address_space:  global
        .offset:         64
        .size:           8
        .value_kind:     global_buffer
      - .address_space:  global
        .offset:         72
        .size:           8
        .value_kind:     global_buffer
      - .offset:         80
        .size:           4
        .value_kind:     by_value
      - .address_space:  global
        .offset:         88
        .size:           8
        .value_kind:     global_buffer
      - .address_space:  global
        .offset:         96
        .size:           8
        .value_kind:     global_buffer
    .group_segment_fixed_size: 10648
    .kernarg_segment_align: 8
    .kernarg_segment_size: 104
    .language:       OpenCL C
    .language_version:
      - 2
      - 0
    .max_flat_workgroup_size: 242
    .name:           bluestein_single_back_len1331_dim1_half_op_CI_CI
    .private_segment_fixed_size: 0
    .sgpr_count:     22
    .sgpr_spill_count: 0
    .symbol:         bluestein_single_back_len1331_dim1_half_op_CI_CI.kd
    .uniform_work_group_size: 1
    .uses_dynamic_stack: false
    .vgpr_count:     160
    .vgpr_spill_count: 0
    .wavefront_size: 32
    .workgroup_processor_mode: 1
amdhsa.target:   amdgcn-amd-amdhsa--gfx1030
amdhsa.version:
  - 1
  - 2
...

	.end_amdgpu_metadata
